;; amdgpu-corpus repo=ROCm/rocFFT kind=compiled arch=gfx906 opt=O3
	.text
	.amdgcn_target "amdgcn-amd-amdhsa--gfx906"
	.amdhsa_code_object_version 6
	.protected	bluestein_single_fwd_len1088_dim1_dp_op_CI_CI ; -- Begin function bluestein_single_fwd_len1088_dim1_dp_op_CI_CI
	.globl	bluestein_single_fwd_len1088_dim1_dp_op_CI_CI
	.p2align	8
	.type	bluestein_single_fwd_len1088_dim1_dp_op_CI_CI,@function
bluestein_single_fwd_len1088_dim1_dp_op_CI_CI: ; @bluestein_single_fwd_len1088_dim1_dp_op_CI_CI
; %bb.0:
	s_mov_b64 s[62:63], s[2:3]
	v_mul_u32_u24_e32 v1, 0x3c4, v0
	s_mov_b64 s[60:61], s[0:1]
	s_load_dwordx4 s[0:3], s[4:5], 0x28
	v_lshrrev_b32_e32 v1, 16, v1
	s_add_u32 s60, s60, s7
	v_mad_u64_u32 v[236:237], s[6:7], s6, 3, v[1:2]
	v_mov_b32_e32 v237, 0
	s_addc_u32 s61, s61, 0
	s_waitcnt lgkmcnt(0)
	v_cmp_gt_u64_e32 vcc, s[0:1], v[236:237]
	s_and_saveexec_b64 s[0:1], vcc
	s_cbranch_execz .LBB0_15
; %bb.1:
	s_mov_b32 s0, 0xaaaaaaab
	v_mul_hi_u32 v2, v236, s0
	v_mul_lo_u16_e32 v1, 0x44, v1
	v_sub_u16_e32 v235, v0, v1
	s_load_dwordx2 s[16:17], s[4:5], 0x0
	s_load_dwordx2 s[18:19], s[4:5], 0x38
	v_lshrrev_b32_e32 v0, 1, v2
	v_lshl_add_u32 v0, v0, 1, v0
	v_sub_u32_e32 v0, v236, v0
	v_mul_u32_u24_e32 v242, 0x440, v0
	v_or_b32_e32 v0, v242, v235
	v_cmp_gt_u16_e32 vcc, 64, v235
	v_lshlrev_b32_e32 v202, 4, v235
	v_lshlrev_b32_e32 v243, 4, v0
	v_or_b32_e32 v241, 64, v235
	s_and_saveexec_b64 s[20:21], vcc
	s_cbranch_execz .LBB0_3
; %bb.2:
	s_load_dwordx2 s[0:1], s[4:5], 0x18
	v_or_b32_e32 v24, 0x100, v235
	v_or_b32_e32 v130, 0x400, v235
	v_lshlrev_b32_e32 v35, 4, v24
	v_lshlrev_b32_e32 v36, 4, v130
	s_waitcnt lgkmcnt(0)
	s_load_dwordx4 s[12:15], s[0:1], 0x0
	v_or_b32_e32 v22, 0x80, v235
	v_or_b32_e32 v23, 0xc0, v235
	;; [unrolled: 1-line block ×4, first 2 shown]
	s_waitcnt lgkmcnt(0)
	v_mad_u64_u32 v[0:1], s[0:1], s14, v236, 0
	v_mad_u64_u32 v[2:3], s[0:1], s12, v235, 0
	v_or_b32_e32 v67, 0x1c0, v235
	v_or_b32_e32 v75, 0x200, v235
	v_mad_u64_u32 v[4:5], s[0:1], s15, v236, v[1:2]
	v_or_b32_e32 v83, 0x240, v235
	v_or_b32_e32 v91, 0x280, v235
	v_mad_u64_u32 v[5:6], s[0:1], s13, v235, v[3:4]
	v_mov_b32_e32 v1, v4
	v_lshlrev_b64 v[0:1], 4, v[0:1]
	v_mov_b32_e32 v3, v5
	v_mov_b32_e32 v6, s3
	v_lshlrev_b64 v[2:3], 4, v[2:3]
	v_add_co_u32_e64 v20, s[0:1], s2, v0
	v_addc_co_u32_e64 v21, s[0:1], v6, v1, s[0:1]
	v_add_co_u32_e64 v8, s[0:1], v20, v2
	v_addc_co_u32_e64 v9, s[0:1], v21, v3, s[0:1]
	global_load_dwordx4 v[0:3], v202, s[16:17]
	global_load_dwordx4 v[4:7], v[8:9], off
	s_nop 0
	global_load_dwordx4 v[8:11], v202, s[16:17] offset:1024
	global_load_dwordx4 v[12:15], v202, s[16:17] offset:2048
	;; [unrolled: 1-line block ×3, first 2 shown]
	global_load_dwordx4 v[27:30], v35, s[16:17]
	global_load_dwordx4 v[31:34], v36, s[16:17]
	v_mad_u64_u32 v[35:36], s[0:1], s12, v241, 0
	v_mad_u64_u32 v[37:38], s[0:1], s12, v22, 0
	;; [unrolled: 1-line block ×7, first 2 shown]
	v_mov_b32_e32 v45, v56
	v_mad_u64_u32 v[47:48], s[0:1], s13, v22, v[38:39]
	v_mad_u64_u32 v[22:23], s[0:1], s13, v23, v[40:41]
	;; [unrolled: 1-line block ×4, first 2 shown]
	v_mov_b32_e32 v36, v46
	v_mov_b32_e32 v38, v47
	;; [unrolled: 1-line block ×5, first 2 shown]
	v_lshlrev_b64 v[22:23], 4, v[35:36]
	v_lshlrev_b64 v[35:36], 4, v[37:38]
	;; [unrolled: 1-line block ×5, first 2 shown]
	v_mad_u64_u32 v[56:57], s[0:1], s13, v26, v[45:46]
	v_add_co_u32_e64 v22, s[0:1], v20, v22
	v_add_co_u32_e64 v63, s[10:11], v20, v41
	;; [unrolled: 1-line block ×5, first 2 shown]
	v_addc_co_u32_e64 v23, s[0:1], v21, v23, s[0:1]
	v_addc_co_u32_e64 v64, s[0:1], v21, v42, s[10:11]
	;; [unrolled: 1-line block ×5, first 2 shown]
	global_load_dwordx4 v[35:38], v[22:23], off
	global_load_dwordx4 v[39:42], v[57:58], off
	;; [unrolled: 1-line block ×5, first 2 shown]
	v_mad_u64_u32 v[63:64], s[0:1], s12, v67, 0
	v_lshlrev_b64 v[55:56], 4, v[55:56]
	v_lshlrev_b32_e32 v22, 4, v25
	v_add_co_u32_e64 v55, s[0:1], v20, v55
	v_mov_b32_e32 v57, v64
	v_addc_co_u32_e64 v56, s[0:1], v21, v56, s[0:1]
	v_mad_u64_u32 v[64:65], s[0:1], s13, v67, v[57:58]
	v_mad_u64_u32 v[71:72], s[0:1], s12, v75, 0
	v_lshlrev_b64 v[63:64], 4, v[63:64]
	v_lshlrev_b32_e32 v26, 4, v26
	global_load_dwordx4 v[22:25], v22, s[16:17]
	v_add_co_u32_e64 v63, s[0:1], v20, v63
	global_load_dwordx4 v[59:62], v26, s[16:17]
	v_mov_b32_e32 v26, v72
	v_addc_co_u32_e64 v64, s[0:1], v21, v64, s[0:1]
	s_waitcnt vmcnt(8)
	v_mad_u64_u32 v[72:73], s[0:1], s13, v75, v[26:27]
	v_mad_u64_u32 v[79:80], s[0:1], s12, v83, 0
	v_lshlrev_b64 v[71:72], 4, v[71:72]
	v_lshlrev_b32_e32 v26, 4, v67
	global_load_dwordx4 v[67:70], v26, s[16:17]
	v_add_co_u32_e64 v71, s[0:1], v20, v71
	v_mov_b32_e32 v26, v80
	v_addc_co_u32_e64 v72, s[0:1], v21, v72, s[0:1]
	v_mad_u64_u32 v[80:81], s[0:1], s13, v83, v[26:27]
	v_mad_u64_u32 v[87:88], s[0:1], s12, v91, 0
	v_lshlrev_b64 v[79:80], 4, v[79:80]
	v_lshlrev_b32_e32 v26, 4, v75
	global_load_dwordx4 v[75:78], v26, s[16:17]
	v_add_co_u32_e64 v79, s[0:1], v20, v79
	v_mov_b32_e32 v26, v88
	v_addc_co_u32_e64 v80, s[0:1], v21, v80, s[0:1]
	v_mad_u64_u32 v[88:89], s[0:1], s13, v91, v[26:27]
	v_or_b32_e32 v99, 0x2c0, v235
	v_mad_u64_u32 v[95:96], s[0:1], s12, v99, 0
	v_lshlrev_b64 v[87:88], 4, v[87:88]
	v_lshlrev_b32_e32 v26, 4, v83
	global_load_dwordx4 v[83:86], v26, s[16:17]
	v_add_co_u32_e64 v87, s[0:1], v20, v87
	v_mov_b32_e32 v26, v96
	v_addc_co_u32_e64 v88, s[0:1], v21, v88, s[0:1]
	v_mad_u64_u32 v[96:97], s[0:1], s13, v99, v[26:27]
	v_or_b32_e32 v107, 0x300, v235
	;; [unrolled: 9-line block ×5, first 2 shown]
	v_mad_u64_u32 v[127:128], s[0:1], s12, v131, 0
	global_load_dwordx4 v[55:58], v[55:56], off
	v_lshlrev_b64 v[119:120], 4, v[119:120]
	global_load_dwordx4 v[63:66], v[63:64], off
	v_lshlrev_b32_e32 v26, 4, v115
	global_load_dwordx4 v[71:74], v[71:72], off
	v_add_co_u32_e64 v119, s[0:1], v20, v119
	global_load_dwordx4 v[115:118], v26, s[16:17]
	v_mov_b32_e32 v26, v128
	v_addc_co_u32_e64 v120, s[0:1], v21, v120, s[0:1]
	v_mad_u64_u32 v[128:129], s[0:1], s13, v131, v[26:27]
	v_mad_u64_u32 v[135:136], s[0:1], s12, v130, 0
	v_lshlrev_b64 v[127:128], 4, v[127:128]
	v_lshlrev_b32_e32 v26, 4, v123
	global_load_dwordx4 v[123:126], v26, s[16:17]
	v_add_co_u32_e64 v127, s[0:1], v20, v127
	v_mov_b32_e32 v26, v136
	v_addc_co_u32_e64 v128, s[0:1], v21, v128, s[0:1]
	v_mad_u64_u32 v[136:137], s[0:1], s13, v130, v[26:27]
	global_load_dwordx4 v[79:82], v[79:80], off
	v_lshlrev_b32_e32 v26, 4, v131
	global_load_dwordx4 v[87:90], v[87:88], off
	v_lshlrev_b64 v[135:136], 4, v[135:136]
	global_load_dwordx4 v[95:98], v[95:96], off
	v_add_co_u32_e64 v20, s[0:1], v20, v135
	global_load_dwordx4 v[103:106], v[103:104], off
	v_addc_co_u32_e64 v21, s[0:1], v21, v136, s[0:1]
	global_load_dwordx4 v[111:114], v[111:112], off
	v_mul_f64 v[139:140], v[6:7], v[2:3]
	global_load_dwordx4 v[119:122], v[119:120], off
	s_nop 0
	global_load_dwordx4 v[127:130], v[127:128], off
	s_nop 0
	global_load_dwordx4 v[131:134], v26, s[16:17]
	global_load_dwordx4 v[135:138], v[20:21], off
	v_mul_f64 v[20:21], v[4:5], v[2:3]
	v_fma_f64 v[2:3], v[4:5], v[0:1], v[139:140]
	v_lshl_add_u32 v139, v242, 4, v202
	v_fma_f64 v[4:5], v[6:7], v[0:1], -v[20:21]
	s_waitcnt vmcnt(26)
	v_mul_f64 v[0:1], v[37:38], v[10:11]
	s_waitcnt vmcnt(25)
	v_mul_f64 v[6:7], v[39:40], v[14:15]
	;; [unrolled: 2-line block ×3, first 2 shown]
	ds_write_b128 v243, v[2:5]
	v_mul_f64 v[2:3], v[35:36], v[10:11]
	v_mul_f64 v[4:5], v[41:42], v[14:15]
	;; [unrolled: 1-line block ×5, first 2 shown]
	v_fma_f64 v[0:1], v[35:36], v[8:9], v[0:1]
	v_fma_f64 v[6:7], v[41:42], v[12:13], -v[6:7]
	v_fma_f64 v[2:3], v[37:38], v[8:9], -v[2:3]
	v_fma_f64 v[4:5], v[39:40], v[12:13], v[4:5]
	v_fma_f64 v[8:9], v[43:44], v[16:17], v[10:11]
	v_fma_f64 v[10:11], v[45:46], v[16:17], -v[14:15]
	v_fma_f64 v[12:13], v[47:48], v[27:28], v[18:19]
	s_waitcnt vmcnt(21)
	v_mul_f64 v[16:17], v[53:54], v[24:25]
	v_mul_f64 v[18:19], v[51:52], v[24:25]
	v_fma_f64 v[14:15], v[49:50], v[27:28], -v[20:21]
	s_waitcnt vmcnt(13)
	v_mul_f64 v[20:21], v[57:58], v[61:62]
	v_mul_f64 v[24:25], v[55:56], v[61:62]
	s_waitcnt vmcnt(12)
	v_mul_f64 v[26:27], v[65:66], v[69:70]
	v_mul_f64 v[28:29], v[63:64], v[69:70]
	;; [unrolled: 3-line block ×3, first 2 shown]
	v_fma_f64 v[16:17], v[51:52], v[22:23], v[16:17]
	v_fma_f64 v[18:19], v[53:54], v[22:23], -v[18:19]
	v_fma_f64 v[20:21], v[55:56], v[59:60], v[20:21]
	v_fma_f64 v[22:23], v[57:58], v[59:60], -v[24:25]
	;; [unrolled: 2-line block ×4, first 2 shown]
	ds_write_b128 v139, v[0:3] offset:1024
	ds_write_b128 v139, v[4:7] offset:2048
	;; [unrolled: 1-line block ×8, first 2 shown]
	s_waitcnt vmcnt(8)
	v_mul_f64 v[0:1], v[81:82], v[85:86]
	v_mul_f64 v[2:3], v[79:80], v[85:86]
	s_waitcnt vmcnt(7)
	v_mul_f64 v[4:5], v[89:90], v[93:94]
	v_mul_f64 v[6:7], v[87:88], v[93:94]
	;; [unrolled: 3-line block ×4, first 2 shown]
	v_fma_f64 v[0:1], v[79:80], v[83:84], v[0:1]
	s_waitcnt vmcnt(4)
	v_mul_f64 v[16:17], v[113:114], v[117:118]
	v_mul_f64 v[18:19], v[111:112], v[117:118]
	s_waitcnt vmcnt(3)
	v_mul_f64 v[20:21], v[121:122], v[125:126]
	v_mul_f64 v[22:23], v[119:120], v[125:126]
	v_fma_f64 v[2:3], v[81:82], v[83:84], -v[2:3]
	v_fma_f64 v[4:5], v[87:88], v[91:92], v[4:5]
	s_waitcnt vmcnt(1)
	v_mul_f64 v[24:25], v[129:130], v[133:134]
	v_mul_f64 v[26:27], v[127:128], v[133:134]
	s_waitcnt vmcnt(0)
	v_mul_f64 v[28:29], v[137:138], v[33:34]
	v_mul_f64 v[33:34], v[135:136], v[33:34]
	v_fma_f64 v[6:7], v[89:90], v[91:92], -v[6:7]
	v_fma_f64 v[8:9], v[95:96], v[99:100], v[8:9]
	v_fma_f64 v[10:11], v[97:98], v[99:100], -v[10:11]
	v_fma_f64 v[12:13], v[103:104], v[107:108], v[12:13]
	;; [unrolled: 2-line block ×6, first 2 shown]
	v_fma_f64 v[30:31], v[137:138], v[31:32], -v[33:34]
	ds_write_b128 v139, v[0:3] offset:9216
	ds_write_b128 v139, v[4:7] offset:10240
	;; [unrolled: 1-line block ×8, first 2 shown]
.LBB0_3:
	s_or_b64 exec, exec, s[20:21]
	s_load_dwordx2 s[0:1], s[4:5], 0x20
	s_load_dwordx2 s[2:3], s[4:5], 0x8
	v_lshlrev_b32_e32 v244, 4, v242
	s_waitcnt lgkmcnt(0)
	s_barrier
	s_waitcnt lgkmcnt(0)
                                        ; implicit-def: $vgpr4_vgpr5
                                        ; implicit-def: $vgpr60_vgpr61
                                        ; implicit-def: $vgpr8_vgpr9
                                        ; implicit-def: $vgpr12_vgpr13
                                        ; implicit-def: $vgpr16_vgpr17
                                        ; implicit-def: $vgpr24_vgpr25
                                        ; implicit-def: $vgpr32_vgpr33
                                        ; implicit-def: $vgpr48_vgpr49
                                        ; implicit-def: $vgpr56_vgpr57
                                        ; implicit-def: $vgpr52_vgpr53
                                        ; implicit-def: $vgpr44_vgpr45
                                        ; implicit-def: $vgpr40_vgpr41
                                        ; implicit-def: $vgpr36_vgpr37
                                        ; implicit-def: $vgpr28_vgpr29
                                        ; implicit-def: $vgpr20_vgpr21
                                        ; implicit-def: $vgpr64_vgpr65
                                        ; implicit-def: $vgpr68_vgpr69
	s_and_saveexec_b64 s[4:5], vcc
	s_cbranch_execz .LBB0_5
; %bb.4:
	v_lshl_add_u32 v0, v235, 4, v244
	ds_read_b128 v[4:7], v243
	ds_read_b128 v[68:71], v0 offset:1024
	ds_read_b128 v[64:67], v0 offset:2048
	;; [unrolled: 1-line block ×16, first 2 shown]
.LBB0_5:
	s_or_b64 exec, exec, s[4:5]
	s_waitcnt lgkmcnt(0)
	v_add_f64 v[134:135], v[70:71], -v[58:59]
	v_add_f64 v[132:133], v[68:69], -v[56:57]
	s_mov_b32 s10, 0x5d8e7cdc
	s_mov_b32 s11, 0xbfd71e95
	v_add_f64 v[108:109], v[56:57], v[68:69]
	v_add_f64 v[156:157], v[58:59], v[70:71]
	v_add_f64 v[144:145], v[66:67], -v[50:51]
	v_add_f64 v[140:141], v[64:65], -v[48:49]
	v_mul_f64 v[110:111], v[134:135], s[10:11]
	v_mul_f64 v[112:113], v[132:133], s[10:11]
	s_mov_b32 s4, 0x370991
	s_mov_b32 s24, 0x2a9d6da3
	;; [unrolled: 1-line block ×4, first 2 shown]
	v_add_f64 v[114:115], v[48:49], v[64:65]
	v_add_f64 v[164:165], v[50:51], v[66:67]
	v_fma_f64 v[0:1], v[108:109], s[4:5], v[110:111]
	v_fma_f64 v[2:3], v[156:157], s[4:5], -v[112:113]
	v_mul_f64 v[116:117], v[144:145], s[24:25]
	v_mul_f64 v[118:119], v[140:141], s[24:25]
	v_add_f64 v[146:147], v[62:63], -v[54:55]
	v_add_f64 v[152:153], v[60:61], -v[52:53]
	s_mov_b32 s8, 0x75d4884
	s_mov_b32 s14, 0x7c9e640b
	s_mov_b32 s9, 0x3fe7a5f6
	s_mov_b32 s15, 0xbfeca52d
	v_add_f64 v[0:1], v[4:5], v[0:1]
	v_add_f64 v[2:3], v[6:7], v[2:3]
	v_fma_f64 v[72:73], v[114:115], s[8:9], v[116:117]
	v_fma_f64 v[74:75], v[164:165], s[8:9], -v[118:119]
	v_add_f64 v[120:121], v[60:61], v[52:53]
	v_add_f64 v[176:177], v[62:63], v[54:55]
	v_mul_f64 v[122:123], v[146:147], s[14:15]
	v_mul_f64 v[124:125], v[152:153], s[14:15]
	v_add_f64 v[160:161], v[10:11], -v[46:47]
	v_add_f64 v[158:159], v[8:9], -v[44:45]
	s_mov_b32 s6, 0x2b2883cd
	s_mov_b32 s34, 0xeb564b22
	s_mov_b32 s7, 0x3fdc86fa
	s_mov_b32 s35, 0xbfefdd0d
	v_add_f64 v[0:1], v[72:73], v[0:1]
	v_add_f64 v[2:3], v[74:75], v[2:3]
	v_fma_f64 v[72:73], v[120:121], s[6:7], v[122:123]
	v_fma_f64 v[74:75], v[176:177], s[6:7], -v[124:125]
	v_add_f64 v[126:127], v[8:9], v[44:45]
	v_add_f64 v[188:189], v[10:11], v[46:47]
	;; [unrolled: 14-line block ×6, first 2 shown]
	v_mul_f64 v[178:179], v[198:199], s[42:43]
	v_mul_f64 v[182:183], v[196:197], s[42:43]
	s_mov_b32 s38, 0x7faef3
	s_mov_b32 s39, 0xbfef7484
	v_add_f64 v[72:73], v[74:75], v[72:73]
	v_add_f64 v[2:3], v[76:77], v[2:3]
	s_barrier
	v_fma_f64 v[74:75], v[172:173], s[38:39], v[178:179]
	v_fma_f64 v[76:77], v[0:1], s[38:39], -v[182:183]
	v_add_f64 v[245:246], v[74:75], v[72:73]
	v_add_f64 v[247:248], v[76:77], v[2:3]
	s_and_saveexec_b64 s[12:13], vcc
	s_cbranch_execz .LBB0_7
; %bb.6:
	v_mul_f64 v[2:3], v[156:157], s[38:39]
	s_mov_b32 s53, 0x3fc7851a
	s_mov_b32 s52, s42
	v_mul_f64 v[74:75], v[164:165], s[4:5]
	v_mul_f64 v[84:85], v[176:177], s[30:31]
	;; [unrolled: 1-line block ×3, first 2 shown]
	s_mov_b32 s47, 0x3fe0d888
	s_mov_b32 s46, s40
	v_fma_f64 v[78:79], v[132:133], s[52:53], v[2:3]
	s_mov_b32 s49, 0x3fd71e95
	s_mov_b32 s48, s10
	v_fma_f64 v[88:89], v[140:141], s[10:11], v[74:75]
	v_mul_f64 v[86:87], v[188:189], s[8:9]
	v_fma_f64 v[92:93], v[152:153], s[46:47], v[84:85]
	v_fma_f64 v[94:95], v[108:109], s[38:39], v[90:91]
	s_mov_b32 s57, 0x3fe58eea
	v_add_f64 v[78:79], v[6:7], v[78:79]
	s_mov_b32 s56, s24
	v_fma_f64 v[2:3], v[132:133], s[42:43], v[2:3]
	v_mul_f64 v[104:105], v[160:161], s[56:57]
	v_fma_f64 v[98:99], v[158:159], s[24:25], v[86:87]
	v_fma_f64 v[90:91], v[108:109], s[38:39], -v[90:91]
	v_add_f64 v[94:95], v[4:5], v[94:95]
	v_mul_f64 v[82:83], v[186:187], s[26:27]
	v_add_f64 v[78:79], v[88:89], v[78:79]
	v_mul_f64 v[88:89], v[144:145], s[48:49]
	v_mul_f64 v[96:97], v[174:175], s[36:37]
	v_fma_f64 v[74:75], v[140:141], s[48:49], v[74:75]
	v_add_f64 v[2:3], v[6:7], v[2:3]
	v_fma_f64 v[203:204], v[126:127], s[8:9], v[104:105]
	v_add_f64 v[90:91], v[4:5], v[90:91]
	s_mov_b32 s55, 0x3fe9895b
	v_add_f64 v[78:79], v[92:93], v[78:79]
	v_mul_f64 v[92:93], v[146:147], s[40:41]
	v_fma_f64 v[100:101], v[114:115], s[4:5], v[88:89]
	v_fma_f64 v[88:89], v[114:115], s[4:5], -v[88:89]
	s_mov_b32 s54, s36
	s_mov_b32 s51, 0x3feca52d
	;; [unrolled: 1-line block ×3, first 2 shown]
	v_mul_f64 v[80:81], v[194:195], s[6:7]
	v_add_f64 v[78:79], v[98:99], v[78:79]
	v_fma_f64 v[98:99], v[120:121], s[30:31], v[92:93]
	v_add_f64 v[94:95], v[100:101], v[94:95]
	v_mul_f64 v[102:103], v[184:185], s[50:51]
	v_fma_f64 v[106:107], v[168:169], s[54:55], v[82:83]
	v_fma_f64 v[84:85], v[152:153], s[40:41], v[84:85]
	v_add_f64 v[2:3], v[74:75], v[2:3]
	v_add_f64 v[88:89], v[88:89], v[90:91]
	v_mul_f64 v[72:73], v[200:201], s[20:21]
	v_fma_f64 v[100:101], v[180:181], s[14:15], v[80:81]
	v_add_f64 v[94:95], v[98:99], v[94:95]
	v_fma_f64 v[98:99], v[136:137], s[26:27], v[96:97]
	v_add_f64 v[78:79], v[106:107], v[78:79]
	v_fma_f64 v[92:93], v[120:121], s[30:31], -v[92:93]
	v_fma_f64 v[86:87], v[158:159], s[56:57], v[86:87]
	v_add_f64 v[2:3], v[84:85], v[2:3]
	v_mul_f64 v[84:85], v[192:193], s[28:29]
	s_mov_b32 s45, 0x3feec746
	v_add_f64 v[90:91], v[203:204], v[94:95]
	v_fma_f64 v[94:95], v[148:149], s[6:7], v[102:103]
	s_mov_b32 s44, s28
	s_mov_b32 s59, 0x3fefdd0d
	;; [unrolled: 1-line block ×3, first 2 shown]
	v_fma_f64 v[74:75], v[190:191], s[44:45], v[72:73]
	v_add_f64 v[78:79], v[100:101], v[78:79]
	v_fma_f64 v[100:101], v[126:127], s[8:9], -v[104:105]
	v_add_f64 v[90:91], v[98:99], v[90:91]
	v_add_f64 v[88:89], v[92:93], v[88:89]
	v_fma_f64 v[82:83], v[168:169], s[36:37], v[82:83]
	v_add_f64 v[2:3], v[86:87], v[2:3]
	v_mul_f64 v[86:87], v[198:199], s[58:59]
	v_fma_f64 v[92:93], v[162:163], s[20:21], v[84:85]
	v_mul_f64 v[76:77], v[0:1], s[22:23]
	v_fma_f64 v[96:97], v[136:137], s[26:27], -v[96:97]
	v_add_f64 v[90:91], v[94:95], v[90:91]
	v_add_f64 v[88:89], v[100:101], v[88:89]
	v_fma_f64 v[80:81], v[180:181], s[50:51], v[80:81]
	v_add_f64 v[2:3], v[82:83], v[2:3]
	v_add_f64 v[74:75], v[74:75], v[78:79]
	v_fma_f64 v[78:79], v[172:173], s[22:23], v[86:87]
	v_fma_f64 v[82:83], v[196:197], s[34:35], v[76:77]
	v_fma_f64 v[94:95], v[148:149], s[6:7], -v[102:103]
	v_add_f64 v[90:91], v[92:93], v[90:91]
	v_add_f64 v[88:89], v[96:97], v[88:89]
	v_fma_f64 v[92:93], v[190:191], s[28:29], v[72:73]
	v_add_f64 v[2:3], v[80:81], v[2:3]
	v_fma_f64 v[80:81], v[162:163], s[20:21], -v[84:85]
	v_mul_f64 v[106:107], v[176:177], s[22:23]
	v_add_f64 v[74:75], v[82:83], v[74:75]
	v_mul_f64 v[102:103], v[144:145], s[50:51]
	v_add_f64 v[72:73], v[78:79], v[90:91]
	;; [unrolled: 2-line block ×3, first 2 shown]
	v_add_f64 v[2:3], v[92:93], v[2:3]
	v_mul_f64 v[92:93], v[164:165], s[6:7]
	v_mul_f64 v[205:206], v[188:189], s[26:27]
	v_fma_f64 v[213:214], v[152:153], s[58:59], v[106:107]
	v_mul_f64 v[98:99], v[186:187], s[4:5]
	v_mul_f64 v[209:210], v[146:147], s[34:35]
	v_fma_f64 v[94:95], v[132:133], s[46:47], v[78:79]
	v_add_f64 v[80:81], v[80:81], v[82:83]
	v_mul_f64 v[82:83], v[134:135], s[40:41]
	v_fma_f64 v[203:204], v[140:141], s[14:15], v[92:93]
	v_fma_f64 v[78:79], v[132:133], s[40:41], v[78:79]
	;; [unrolled: 1-line block ×4, first 2 shown]
	v_fma_f64 v[102:103], v[114:115], s[6:7], -v[102:103]
	v_add_f64 v[94:95], v[6:7], v[94:95]
	v_mul_f64 v[88:89], v[194:195], s[38:39]
	v_fma_f64 v[104:105], v[108:109], s[30:31], v[82:83]
	v_fma_f64 v[82:83], v[108:109], s[30:31], -v[82:83]
	v_add_f64 v[78:79], v[6:7], v[78:79]
	v_fma_f64 v[207:208], v[168:169], s[48:49], v[98:99]
	v_mul_f64 v[215:216], v[160:161], s[54:55]
	v_fma_f64 v[217:218], v[120:121], s[22:23], v[209:210]
	v_add_f64 v[94:95], v[203:204], v[94:95]
	v_fma_f64 v[203:204], v[158:159], s[36:37], v[205:206]
	v_add_f64 v[104:105], v[4:5], v[104:105]
	v_add_f64 v[82:83], v[4:5], v[82:83]
	v_fma_f64 v[106:107], v[152:153], s[34:35], v[106:107]
	v_add_f64 v[78:79], v[92:93], v[78:79]
	v_fma_f64 v[100:101], v[180:181], s[52:53], v[88:89]
	v_fma_f64 v[76:77], v[196:197], s[58:59], v[76:77]
	v_add_f64 v[94:95], v[213:214], v[94:95]
	v_fma_f64 v[213:214], v[126:127], s[26:27], v[215:216]
	v_add_f64 v[104:105], v[211:212], v[104:105]
	v_add_f64 v[82:83], v[102:103], v[82:83]
	v_mul_f64 v[211:212], v[174:175], s[10:11]
	v_add_f64 v[78:79], v[106:107], v[78:79]
	v_fma_f64 v[106:107], v[126:127], s[26:27], -v[215:216]
	v_mul_f64 v[102:103], v[184:185], s[42:43]
	v_add_f64 v[92:93], v[203:204], v[94:95]
	v_fma_f64 v[94:95], v[120:121], s[22:23], -v[209:210]
	v_add_f64 v[104:105], v[217:218], v[104:105]
	v_mul_f64 v[84:85], v[200:201], s[8:9]
	v_fma_f64 v[203:204], v[136:137], s[4:5], v[211:212]
	v_fma_f64 v[205:206], v[158:159], s[54:55], v[205:206]
	v_fma_f64 v[86:87], v[172:173], s[22:23], -v[86:87]
	v_mul_f64 v[90:91], v[0:1], s[20:21]
	v_add_f64 v[92:93], v[207:208], v[92:93]
	v_add_f64 v[82:83], v[94:95], v[82:83]
	;; [unrolled: 1-line block ×3, first 2 shown]
	v_mul_f64 v[94:95], v[192:193], s[56:57]
	v_fma_f64 v[207:208], v[148:149], s[38:39], v[102:103]
	v_fma_f64 v[102:103], v[148:149], s[38:39], -v[102:103]
	v_fma_f64 v[96:97], v[190:191], s[24:25], v[84:85]
	v_fma_f64 v[98:99], v[168:169], s[10:11], v[98:99]
	v_add_f64 v[92:93], v[100:101], v[92:93]
	v_fma_f64 v[100:101], v[136:137], s[4:5], -v[211:212]
	v_add_f64 v[82:83], v[106:107], v[82:83]
	v_add_f64 v[104:105], v[203:204], v[104:105]
	v_mul_f64 v[106:107], v[198:199], s[28:29]
	v_fma_f64 v[203:204], v[162:163], s[8:9], v[94:95]
	v_add_f64 v[78:79], v[205:206], v[78:79]
	v_add_f64 v[80:81], v[86:87], v[80:81]
	;; [unrolled: 1-line block ×3, first 2 shown]
	v_fma_f64 v[86:87], v[196:197], s[28:29], v[90:91]
	v_add_f64 v[100:101], v[100:101], v[82:83]
	v_add_f64 v[104:105], v[207:208], v[104:105]
	;; [unrolled: 1-line block ×3, first 2 shown]
	v_fma_f64 v[2:3], v[162:163], s[8:9], -v[94:95]
	v_fma_f64 v[96:97], v[172:173], s[20:21], v[106:107]
	v_add_f64 v[78:79], v[98:99], v[78:79]
	v_fma_f64 v[98:99], v[196:197], s[44:45], v[90:91]
	v_fma_f64 v[90:91], v[172:173], s[20:21], -v[106:107]
	v_add_f64 v[94:95], v[102:103], v[100:101]
	v_add_f64 v[104:105], v[203:204], v[104:105]
	v_mul_f64 v[106:107], v[164:165], s[20:21]
	v_mul_f64 v[207:208], v[176:177], s[4:5]
	;; [unrolled: 1-line block ×3, first 2 shown]
	v_fma_f64 v[88:89], v[180:181], s[42:43], v[88:89]
	v_mul_f64 v[100:101], v[188:189], s[30:31]
	v_mul_f64 v[221:222], v[146:147], s[10:11]
	v_add_f64 v[2:3], v[2:3], v[94:95]
	v_mul_f64 v[94:95], v[156:157], s[26:27]
	v_add_f64 v[76:77], v[96:97], v[104:105]
	v_mul_f64 v[104:105], v[134:135], s[36:37]
	v_fma_f64 v[217:218], v[140:141], s[28:29], v[106:107]
	v_fma_f64 v[219:220], v[152:153], s[48:49], v[207:208]
	;; [unrolled: 1-line block ×4, first 2 shown]
	v_fma_f64 v[213:214], v[114:115], s[20:21], -v[213:214]
	v_fma_f64 v[205:206], v[132:133], s[54:55], v[94:95]
	v_fma_f64 v[94:95], v[132:133], s[36:37], v[94:95]
	;; [unrolled: 1-line block ×3, first 2 shown]
	v_fma_f64 v[104:105], v[108:109], s[26:27], -v[104:105]
	v_add_f64 v[88:89], v[88:89], v[78:79]
	v_add_f64 v[78:79], v[98:99], v[92:93]
	v_mul_f64 v[98:99], v[186:187], s[22:23]
	v_fma_f64 v[211:212], v[158:159], s[46:47], v[100:101]
	v_add_f64 v[205:206], v[6:7], v[205:206]
	v_add_f64 v[94:95], v[6:7], v[94:95]
	;; [unrolled: 1-line block ×4, first 2 shown]
	v_fma_f64 v[207:208], v[152:153], s[10:11], v[207:208]
	v_mul_f64 v[92:93], v[194:195], s[8:9]
	v_fma_f64 v[209:210], v[168:169], s[34:35], v[98:99]
	v_fma_f64 v[225:226], v[120:121], s[4:5], v[221:222]
	v_add_f64 v[205:206], v[217:218], v[205:206]
	v_mul_f64 v[217:218], v[160:161], s[40:41]
	v_add_f64 v[94:95], v[106:107], v[94:95]
	v_add_f64 v[104:105], v[213:214], v[104:105]
	;; [unrolled: 1-line block ×3, first 2 shown]
	v_mul_f64 v[213:214], v[174:175], s[58:59]
	v_fma_f64 v[100:101], v[158:159], s[40:41], v[100:101]
	v_fma_f64 v[84:85], v[190:191], s[56:57], v[84:85]
	v_add_f64 v[106:107], v[219:220], v[205:206]
	v_fma_f64 v[205:206], v[120:121], s[4:5], -v[221:222]
	v_add_f64 v[94:95], v[207:208], v[94:95]
	v_fma_f64 v[207:208], v[126:127], s[30:31], -v[217:218]
	v_fma_f64 v[203:204], v[180:181], s[56:57], v[92:93]
	v_fma_f64 v[219:220], v[126:127], s[30:31], v[217:218]
	v_add_f64 v[215:216], v[225:226], v[215:216]
	v_fma_f64 v[98:99], v[168:169], s[58:59], v[98:99]
	v_add_f64 v[106:107], v[211:212], v[106:107]
	v_add_f64 v[104:105], v[205:206], v[104:105]
	v_mul_f64 v[205:206], v[184:185], s[24:25]
	v_add_f64 v[94:95], v[100:101], v[94:95]
	v_add_f64 v[84:85], v[84:85], v[88:89]
	v_mul_f64 v[88:89], v[200:201], s[38:39]
	v_fma_f64 v[211:212], v[136:137], s[22:23], v[213:214]
	v_add_f64 v[215:216], v[219:220], v[215:216]
	v_add_f64 v[100:101], v[209:210], v[106:107]
	v_fma_f64 v[106:107], v[136:137], s[22:23], -v[213:214]
	v_add_f64 v[104:105], v[207:208], v[104:105]
	v_mul_f64 v[207:208], v[192:193], s[42:43]
	v_fma_f64 v[92:93], v[180:181], s[24:25], v[92:93]
	v_add_f64 v[94:95], v[98:99], v[94:95]
	v_mul_f64 v[96:97], v[0:1], s[6:7]
	v_fma_f64 v[102:103], v[190:191], s[52:53], v[88:89]
	v_add_f64 v[98:99], v[203:204], v[100:101]
	v_fma_f64 v[100:101], v[148:149], s[8:9], -v[205:206]
	v_add_f64 v[104:105], v[106:107], v[104:105]
	v_fma_f64 v[209:210], v[148:149], s[8:9], v[205:206]
	v_add_f64 v[211:212], v[211:212], v[215:216]
	v_mul_f64 v[106:107], v[198:199], s[50:51]
	v_fma_f64 v[203:204], v[162:163], s[38:39], v[207:208]
	v_fma_f64 v[88:89], v[190:191], s[42:43], v[88:89]
	v_add_f64 v[92:93], v[92:93], v[94:95]
	v_fma_f64 v[207:208], v[162:163], s[38:39], -v[207:208]
	v_add_f64 v[100:101], v[100:101], v[104:105]
	v_fma_f64 v[94:95], v[196:197], s[14:15], v[96:97]
	v_add_f64 v[205:206], v[209:210], v[211:212]
	v_add_f64 v[98:99], v[102:103], v[98:99]
	v_fma_f64 v[102:103], v[172:173], s[6:7], v[106:107]
	v_fma_f64 v[96:97], v[196:197], s[50:51], v[96:97]
	v_add_f64 v[92:93], v[88:89], v[92:93]
	v_fma_f64 v[106:107], v[172:173], s[6:7], -v[106:107]
	v_add_f64 v[100:101], v[207:208], v[100:101]
	v_add_f64 v[86:87], v[86:87], v[84:85]
	v_add_f64 v[104:105], v[203:204], v[205:206]
	v_add_f64 v[84:85], v[90:91], v[2:3]
	v_mul_f64 v[2:3], v[156:157], s[20:21]
	v_add_f64 v[90:91], v[94:95], v[98:99]
	v_add_f64 v[94:95], v[96:97], v[92:93]
	v_mul_f64 v[98:99], v[164:165], s[30:31]
	v_add_f64 v[92:93], v[106:107], v[100:101]
	v_mul_f64 v[100:101], v[134:135], s[28:29]
	;; [unrolled: 2-line block ×3, first 2 shown]
	v_fma_f64 v[102:103], v[132:133], s[44:45], v[2:3]
	v_mul_f64 v[203:204], v[176:177], s[8:9]
	v_fma_f64 v[2:3], v[132:133], s[28:29], v[2:3]
	v_fma_f64 v[207:208], v[140:141], s[40:41], v[98:99]
	v_mul_f64 v[219:220], v[146:147], s[56:57]
	v_fma_f64 v[211:212], v[108:109], s[20:21], v[100:101]
	v_mul_f64 v[215:216], v[188:189], s[6:7]
	v_fma_f64 v[221:222], v[114:115], s[30:31], v[209:210]
	v_add_f64 v[102:103], v[6:7], v[102:103]
	v_fma_f64 v[217:218], v[152:153], s[24:25], v[203:204]
	v_fma_f64 v[98:99], v[140:141], s[46:47], v[98:99]
	v_add_f64 v[2:3], v[6:7], v[2:3]
	v_mul_f64 v[225:226], v[160:161], s[14:15]
	v_add_f64 v[211:212], v[4:5], v[211:212]
	v_fma_f64 v[227:228], v[120:121], s[8:9], v[219:220]
	v_fma_f64 v[223:224], v[158:159], s[50:51], v[215:216]
	v_add_f64 v[102:103], v[207:208], v[102:103]
	v_mul_f64 v[207:208], v[186:187], s[38:39]
	v_fma_f64 v[203:204], v[152:153], s[56:57], v[203:204]
	v_fma_f64 v[100:101], v[108:109], s[20:21], -v[100:101]
	v_add_f64 v[2:3], v[98:99], v[2:3]
	v_add_f64 v[211:212], v[221:222], v[211:212]
	v_mul_f64 v[98:99], v[174:175], s[42:43]
	v_fma_f64 v[221:222], v[126:127], s[6:7], v[225:226]
	v_add_f64 v[102:103], v[217:218], v[102:103]
	v_mul_f64 v[104:105], v[194:195], s[22:23]
	v_fma_f64 v[217:218], v[168:169], s[52:53], v[207:208]
	v_fma_f64 v[215:216], v[158:159], s[14:15], v[215:216]
	v_fma_f64 v[209:210], v[114:115], s[30:31], -v[209:210]
	v_add_f64 v[211:212], v[227:228], v[211:212]
	v_add_f64 v[100:101], v[4:5], v[100:101]
	;; [unrolled: 1-line block ×4, first 2 shown]
	v_mul_f64 v[203:204], v[184:185], s[58:59]
	v_fma_f64 v[223:224], v[136:137], s[38:39], v[98:99]
	v_mul_f64 v[96:97], v[200:201], s[4:5]
	v_fma_f64 v[213:214], v[180:181], s[34:35], v[104:105]
	v_add_f64 v[211:212], v[221:222], v[211:212]
	v_fma_f64 v[207:208], v[168:169], s[42:43], v[207:208]
	v_add_f64 v[100:101], v[209:210], v[100:101]
	v_add_f64 v[102:103], v[217:218], v[102:103]
	v_fma_f64 v[217:218], v[120:121], s[8:9], -v[219:220]
	v_add_f64 v[2:3], v[215:216], v[2:3]
	v_mul_f64 v[209:210], v[192:193], s[10:11]
	v_fma_f64 v[215:216], v[148:149], s[22:23], v[203:204]
	v_add_f64 v[211:212], v[223:224], v[211:212]
	v_fma_f64 v[205:206], v[190:191], s[48:49], v[96:97]
	v_fma_f64 v[104:105], v[180:181], s[58:59], v[104:105]
	v_add_f64 v[102:103], v[213:214], v[102:103]
	v_fma_f64 v[213:214], v[126:127], s[6:7], -v[225:226]
	v_add_f64 v[100:101], v[217:218], v[100:101]
	v_add_f64 v[2:3], v[207:208], v[2:3]
	v_mul_f64 v[207:208], v[198:199], s[36:37]
	v_fma_f64 v[217:218], v[162:163], s[4:5], v[209:210]
	v_add_f64 v[211:212], v[215:216], v[211:212]
	v_mul_f64 v[106:107], v[0:1], s[26:27]
	v_fma_f64 v[96:97], v[190:191], s[10:11], v[96:97]
	v_fma_f64 v[98:99], v[136:137], s[38:39], -v[98:99]
	v_add_f64 v[100:101], v[213:214], v[100:101]
	v_add_f64 v[2:3], v[104:105], v[2:3]
	v_add_f64 v[102:103], v[205:206], v[102:103]
	v_fma_f64 v[104:105], v[172:173], s[26:27], v[207:208]
	v_add_f64 v[205:206], v[217:218], v[211:212]
	v_fma_f64 v[215:216], v[196:197], s[54:55], v[106:107]
	v_mul_f64 v[211:212], v[156:157], s[22:23]
	v_fma_f64 v[203:204], v[148:149], s[22:23], -v[203:204]
	v_add_f64 v[100:101], v[98:99], v[100:101]
	v_add_f64 v[2:3], v[96:97], v[2:3]
	v_fma_f64 v[106:107], v[196:197], s[36:37], v[106:107]
	v_mul_f64 v[213:214], v[164:165], s[38:39]
	v_add_f64 v[96:97], v[104:105], v[205:206]
	v_mul_f64 v[104:105], v[134:135], s[34:35]
	v_add_f64 v[98:99], v[215:216], v[102:103]
	v_fma_f64 v[205:206], v[132:133], s[58:59], v[211:212]
	v_add_f64 v[100:101], v[203:204], v[100:101]
	v_mul_f64 v[203:204], v[144:145], s[42:43]
	v_fma_f64 v[209:210], v[162:163], s[4:5], -v[209:210]
	v_add_f64 v[102:103], v[106:107], v[2:3]
	v_mul_f64 v[2:3], v[176:177], s[20:21]
	v_fma_f64 v[215:216], v[108:109], s[22:23], v[104:105]
	v_fma_f64 v[106:107], v[140:141], s[52:53], v[213:214]
	v_add_f64 v[205:206], v[6:7], v[205:206]
	v_mul_f64 v[219:220], v[146:147], s[44:45]
	v_fma_f64 v[221:222], v[114:115], s[38:39], v[203:204]
	v_add_f64 v[100:101], v[209:210], v[100:101]
	v_mul_f64 v[209:210], v[188:189], s[4:5]
	v_fma_f64 v[217:218], v[152:153], s[28:29], v[2:3]
	v_add_f64 v[215:216], v[4:5], v[215:216]
	v_fma_f64 v[211:212], v[132:133], s[34:35], v[211:212]
	v_add_f64 v[106:107], v[106:107], v[205:206]
	v_mul_f64 v[227:228], v[160:161], s[48:49]
	v_fma_f64 v[229:230], v[120:121], s[20:21], v[219:220]
	v_mul_f64 v[223:224], v[186:187], s[6:7]
	v_fma_f64 v[225:226], v[158:159], s[10:11], v[209:210]
	v_fma_f64 v[213:214], v[140:141], s[42:43], v[213:214]
	v_add_f64 v[215:216], v[221:222], v[215:216]
	v_add_f64 v[211:212], v[6:7], v[211:212]
	v_add_f64 v[106:107], v[217:218], v[106:107]
	v_mul_f64 v[231:232], v[174:175], s[14:15]
	v_fma_f64 v[233:234], v[126:127], s[4:5], v[227:228]
	v_mul_f64 v[217:218], v[194:195], s[30:31]
	v_fma_f64 v[221:222], v[168:169], s[50:51], v[223:224]
	v_fma_f64 v[2:3], v[152:153], s[44:45], v[2:3]
	v_add_f64 v[215:216], v[229:230], v[215:216]
	v_add_f64 v[211:212], v[213:214], v[211:212]
	v_add_f64 v[106:107], v[225:226], v[106:107]
	v_mul_f64 v[213:214], v[184:185], s[40:41]
	v_fma_f64 v[237:238], v[136:137], s[6:7], v[231:232]
	v_fma_f64 v[229:230], v[180:181], s[46:47], v[217:218]
	v_fma_f64 v[104:105], v[108:109], s[22:23], -v[104:105]
	v_fma_f64 v[209:210], v[158:159], s[48:49], v[209:210]
	v_add_f64 v[215:216], v[233:234], v[215:216]
	v_add_f64 v[2:3], v[2:3], v[211:212]
	;; [unrolled: 1-line block ×3, first 2 shown]
	v_mul_f64 v[211:212], v[192:193], s[54:55]
	v_fma_f64 v[233:234], v[148:149], s[30:31], v[213:214]
	v_mul_f64 v[225:226], v[200:201], s[26:27]
	v_fma_f64 v[203:204], v[114:115], s[38:39], -v[203:204]
	v_add_f64 v[104:105], v[4:5], v[104:105]
	v_add_f64 v[215:216], v[237:238], v[215:216]
	v_fma_f64 v[223:224], v[168:169], s[14:15], v[223:224]
	v_add_f64 v[106:107], v[229:230], v[106:107]
	v_add_f64 v[2:3], v[209:210], v[2:3]
	v_mul_f64 v[209:210], v[198:199], s[56:57]
	v_fma_f64 v[229:230], v[162:163], s[26:27], v[211:212]
	v_fma_f64 v[207:208], v[172:173], s[26:27], -v[207:208]
	v_fma_f64 v[221:222], v[190:191], s[36:37], v[225:226]
	v_add_f64 v[215:216], v[233:234], v[215:216]
	v_fma_f64 v[219:220], v[120:121], s[20:21], -v[219:220]
	v_add_f64 v[104:105], v[203:204], v[104:105]
	v_fma_f64 v[203:204], v[180:181], s[40:41], v[217:218]
	v_add_f64 v[2:3], v[223:224], v[2:3]
	v_fma_f64 v[217:218], v[172:173], s[8:9], v[209:210]
	v_add_f64 v[100:101], v[207:208], v[100:101]
	v_add_f64 v[106:107], v[221:222], v[106:107]
	;; [unrolled: 1-line block ×3, first 2 shown]
	v_fma_f64 v[207:208], v[126:127], s[4:5], -v[227:228]
	v_add_f64 v[219:220], v[219:220], v[104:105]
	v_fma_f64 v[221:222], v[190:191], s[54:55], v[225:226]
	v_add_f64 v[2:3], v[203:204], v[2:3]
	v_mul_f64 v[223:224], v[156:157], s[6:7]
	v_mul_f64 v[205:206], v[0:1], s[8:9]
	v_fma_f64 v[203:204], v[136:137], s[6:7], -v[231:232]
	v_add_f64 v[104:105], v[217:218], v[215:216]
	v_mul_f64 v[215:216], v[134:135], s[14:15]
	v_add_f64 v[207:208], v[207:208], v[219:220]
	v_mul_f64 v[217:218], v[164:165], s[26:27]
	v_add_f64 v[2:3], v[221:222], v[2:3]
	v_fma_f64 v[219:220], v[132:133], s[50:51], v[223:224]
	v_mul_f64 v[221:222], v[144:145], s[36:37]
	v_fma_f64 v[233:234], v[196:197], s[24:25], v[205:206]
	v_fma_f64 v[205:206], v[196:197], s[56:57], v[205:206]
	;; [unrolled: 1-line block ×3, first 2 shown]
	v_fma_f64 v[213:214], v[148:149], s[30:31], -v[213:214]
	v_add_f64 v[203:204], v[203:204], v[207:208]
	v_mul_f64 v[207:208], v[176:177], s[38:39]
	v_fma_f64 v[227:228], v[140:141], s[54:55], v[217:218]
	v_add_f64 v[219:220], v[6:7], v[219:220]
	v_mul_f64 v[229:230], v[146:147], s[52:53]
	v_fma_f64 v[231:232], v[114:115], s[26:27], v[221:222]
	v_add_f64 v[225:226], v[4:5], v[225:226]
	v_add_f64 v[106:107], v[233:234], v[106:107]
	v_fma_f64 v[211:212], v[162:163], s[26:27], -v[211:212]
	v_add_f64 v[203:204], v[213:214], v[203:204]
	v_mul_f64 v[213:214], v[188:189], s[20:21]
	v_fma_f64 v[233:234], v[152:153], s[42:43], v[207:208]
	v_add_f64 v[219:220], v[227:228], v[219:220]
	v_mul_f64 v[227:228], v[160:161], s[44:45]
	v_fma_f64 v[237:238], v[120:121], s[38:39], v[229:230]
	v_add_f64 v[225:226], v[231:232], v[225:226]
	v_add_f64 v[205:206], v[205:206], v[2:3]
	v_fma_f64 v[2:3], v[132:133], s[14:15], v[223:224]
	v_fma_f64 v[209:210], v[172:173], s[8:9], -v[209:210]
	v_add_f64 v[203:204], v[211:212], v[203:204]
	v_mul_f64 v[211:212], v[186:187], s[8:9]
	v_fma_f64 v[231:232], v[158:159], s[28:29], v[213:214]
	v_add_f64 v[219:220], v[233:234], v[219:220]
	v_mul_f64 v[233:234], v[174:175], s[56:57]
	v_fma_f64 v[239:240], v[126:127], s[20:21], v[227:228]
	v_add_f64 v[225:226], v[237:238], v[225:226]
	v_fma_f64 v[217:218], v[140:141], s[36:37], v[217:218]
	v_add_f64 v[2:3], v[6:7], v[2:3]
	v_fma_f64 v[215:216], v[108:109], s[6:7], -v[215:216]
	v_add_f64 v[203:204], v[209:210], v[203:204]
	v_mul_f64 v[223:224], v[194:195], s[4:5]
	v_fma_f64 v[209:210], v[168:169], s[24:25], v[211:212]
	v_add_f64 v[219:220], v[231:232], v[219:220]
	v_fma_f64 v[231:232], v[136:137], s[8:9], v[233:234]
	v_add_f64 v[225:226], v[239:240], v[225:226]
	v_mul_f64 v[237:238], v[184:185], s[10:11]
	v_add_f64 v[2:3], v[217:218], v[2:3]
	v_fma_f64 v[207:208], v[152:153], s[52:53], v[207:208]
	v_fma_f64 v[221:222], v[114:115], s[26:27], -v[221:222]
	v_add_f64 v[215:216], v[4:5], v[215:216]
	v_mul_f64 v[239:240], v[200:201], s[22:23]
	v_add_f64 v[209:210], v[209:210], v[219:220]
	v_fma_f64 v[219:220], v[180:181], s[48:49], v[223:224]
	v_add_f64 v[225:226], v[231:232], v[225:226]
	v_fma_f64 v[231:232], v[148:149], s[4:5], v[237:238]
	v_add_f64 v[2:3], v[207:208], v[2:3]
	v_fma_f64 v[213:214], v[158:159], s[44:45], v[213:214]
	v_add_f64 v[215:216], v[221:222], v[215:216]
	v_fma_f64 v[229:230], v[120:121], s[38:39], -v[229:230]
	v_fma_f64 v[211:212], v[168:169], s[56:57], v[211:212]
	v_add_f64 v[209:210], v[219:220], v[209:210]
	v_mul_f64 v[219:220], v[0:1], s[30:31]
	v_add_f64 v[225:226], v[231:232], v[225:226]
	v_fma_f64 v[231:232], v[190:191], s[58:59], v[239:240]
	v_add_f64 v[2:3], v[213:214], v[2:3]
	v_fma_f64 v[227:228], v[126:127], s[20:21], -v[227:228]
	v_add_f64 v[215:216], v[229:230], v[215:216]
	v_add_f64 v[70:71], v[6:7], v[70:71]
	v_fma_f64 v[223:224], v[180:181], s[10:11], v[223:224]
	v_fma_f64 v[233:234], v[136:137], s[8:9], -v[233:234]
	v_add_f64 v[68:69], v[4:5], v[68:69]
	v_add_f64 v[209:210], v[231:232], v[209:210]
	v_fma_f64 v[231:232], v[196:197], s[46:47], v[219:220]
	v_add_f64 v[2:3], v[211:212], v[2:3]
	v_add_f64 v[215:216], v[227:228], v[215:216]
	;; [unrolled: 1-line block ×3, first 2 shown]
	v_mul_f64 v[70:71], v[156:157], s[8:9]
	v_fma_f64 v[239:240], v[190:191], s[34:35], v[239:240]
	v_add_f64 v[64:65], v[64:65], v[68:69]
	v_mul_f64 v[217:218], v[192:193], s[34:35]
	v_add_f64 v[209:210], v[231:232], v[209:210]
	v_mul_f64 v[231:232], v[164:165], s[8:9]
	v_add_f64 v[2:3], v[223:224], v[2:3]
	v_add_f64 v[215:216], v[233:234], v[215:216]
	v_fma_f64 v[233:234], v[148:149], s[4:5], -v[237:238]
	v_mul_f64 v[164:165], v[164:165], s[22:23]
	v_fma_f64 v[237:238], v[132:133], s[56:57], v[70:71]
	v_mul_f64 v[227:228], v[176:177], s[6:7]
	v_mul_f64 v[176:177], v[176:177], s[26:27]
	;; [unrolled: 1-line block ×3, first 2 shown]
	v_add_f64 v[2:3], v[239:240], v[2:3]
	v_fma_f64 v[70:71], v[132:133], s[24:25], v[70:71]
	v_add_f64 v[62:63], v[62:63], v[66:67]
	v_fma_f64 v[239:240], v[140:141], s[58:59], v[164:165]
	v_add_f64 v[237:238], v[6:7], v[237:238]
	v_add_f64 v[60:61], v[60:61], v[64:65]
	v_fma_f64 v[207:208], v[162:163], s[22:23], v[217:218]
	v_mul_f64 v[229:230], v[156:157], s[4:5]
	v_mul_f64 v[156:157], v[188:189], s[22:23]
	v_fma_f64 v[217:218], v[162:163], s[22:23], -v[217:218]
	v_add_f64 v[215:216], v[233:234], v[215:216]
	v_mul_f64 v[132:133], v[188:189], s[38:39]
	v_fma_f64 v[188:189], v[152:153], s[54:55], v[176:177]
	v_add_f64 v[237:238], v[239:240], v[237:238]
	v_mul_f64 v[144:145], v[144:145], s[34:35]
	v_fma_f64 v[140:141], v[140:141], s[34:35], v[164:165]
	v_add_f64 v[70:71], v[6:7], v[70:71]
	v_fma_f64 v[164:165], v[108:109], s[8:9], v[134:135]
	v_add_f64 v[10:11], v[10:11], v[62:63]
	v_add_f64 v[8:9], v[8:9], v[60:61]
	v_mul_f64 v[64:65], v[186:187], s[20:21]
	v_add_f64 v[215:216], v[217:218], v[215:216]
	v_fma_f64 v[217:218], v[158:159], s[52:53], v[132:133]
	v_add_f64 v[188:189], v[188:189], v[237:238]
	v_fma_f64 v[152:153], v[152:153], s[36:37], v[176:177]
	;; [unrolled: 2-line block ×3, first 2 shown]
	v_add_f64 v[164:165], v[4:5], v[164:165]
	v_mul_f64 v[146:147], v[146:147], s[36:37]
	v_mul_f64 v[186:187], v[186:187], s[30:31]
	v_add_f64 v[10:11], v[22:23], v[10:11]
	v_add_f64 v[8:9], v[20:21], v[8:9]
	v_mul_f64 v[233:234], v[194:195], s[26:27]
	v_add_f64 v[188:189], v[217:218], v[188:189]
	v_mul_f64 v[194:195], v[194:195], s[20:21]
	;; [unrolled: 2-line block ×3, first 2 shown]
	v_fma_f64 v[132:133], v[158:159], s[42:43], v[132:133]
	v_fma_f64 v[158:159], v[120:121], s[26:27], v[146:147]
	v_add_f64 v[70:71], v[152:153], v[70:71]
	v_fma_f64 v[152:153], v[168:169], s[40:41], v[186:187]
	v_add_f64 v[10:11], v[30:31], v[10:11]
	v_add_f64 v[8:9], v[28:29], v[8:9]
	v_mul_f64 v[221:222], v[198:199], s[40:41]
	v_mul_f64 v[237:238], v[200:201], s[30:31]
	;; [unrolled: 1-line block ×3, first 2 shown]
	v_fma_f64 v[62:63], v[180:181], s[28:29], v[194:195]
	v_add_f64 v[140:141], v[158:159], v[140:141]
	v_fma_f64 v[158:159], v[126:127], s[38:39], v[160:161]
	v_add_f64 v[152:153], v[152:153], v[188:189]
	;; [unrolled: 2-line block ×3, first 2 shown]
	v_add_f64 v[10:11], v[14:15], v[10:11]
	v_add_f64 v[8:9], v[12:13], v[8:9]
	;; [unrolled: 1-line block ×3, first 2 shown]
	v_fma_f64 v[225:226], v[172:173], s[30:31], v[221:222]
	v_mul_f64 v[213:214], v[108:109], s[4:5]
	v_fma_f64 v[60:61], v[190:191], s[14:15], v[200:201]
	v_add_f64 v[132:133], v[158:159], v[140:141]
	v_add_f64 v[62:63], v[62:63], v[152:153]
	v_fma_f64 v[140:141], v[180:181], s[44:45], v[194:195]
	v_add_f64 v[70:71], v[168:169], v[70:71]
	v_add_f64 v[10:11], v[18:19], v[10:11]
	;; [unrolled: 1-line block ×4, first 2 shown]
	v_mul_f64 v[225:226], v[114:115], s[8:9]
	v_add_f64 v[112:113], v[112:113], v[229:230]
	v_add_f64 v[16:17], v[213:214], -v[110:111]
	v_add_f64 v[60:61], v[60:61], v[62:63]
	v_fma_f64 v[62:63], v[190:191], s[50:51], v[200:201]
	v_add_f64 v[70:71], v[140:141], v[70:71]
	v_fma_f64 v[18:19], v[108:109], s[8:9], -v[134:135]
	v_add_f64 v[10:11], v[38:39], v[10:11]
	v_add_f64 v[8:9], v[36:37], v[8:9]
	v_mul_f64 v[211:212], v[120:121], s[6:7]
	v_add_f64 v[108:109], v[118:119], v[231:232]
	v_add_f64 v[6:7], v[6:7], v[112:113]
	v_add_f64 v[110:111], v[225:226], -v[116:117]
	v_add_f64 v[16:17], v[4:5], v[16:17]
	v_add_f64 v[62:63], v[62:63], v[70:71]
	v_fma_f64 v[70:71], v[114:115], s[22:23], -v[144:145]
	v_add_f64 v[4:5], v[4:5], v[18:19]
	v_add_f64 v[10:11], v[42:43], v[10:11]
	;; [unrolled: 1-line block ×3, first 2 shown]
	v_mul_f64 v[68:69], v[126:127], s[22:23]
	v_add_f64 v[36:37], v[124:125], v[227:228]
	v_add_f64 v[6:7], v[108:109], v[6:7]
	v_add_f64 v[38:39], v[211:212], -v[122:123]
	v_add_f64 v[16:17], v[110:111], v[16:17]
	v_fma_f64 v[18:19], v[120:121], s[26:27], -v[146:147]
	v_add_f64 v[4:5], v[70:71], v[4:5]
	v_add_f64 v[10:11], v[26:27], v[10:11]
	;; [unrolled: 1-line block ×3, first 2 shown]
	v_mul_f64 v[223:224], v[136:137], s[20:21]
	v_add_f64 v[42:43], v[130:131], v[156:157]
	v_add_f64 v[6:7], v[36:37], v[6:7]
	v_add_f64 v[36:37], v[68:69], -v[128:129]
	v_add_f64 v[16:17], v[38:39], v[16:17]
	v_mul_f64 v[174:175], v[174:175], s[46:47]
	v_fma_f64 v[40:41], v[126:127], s[38:39], -v[160:161]
	v_add_f64 v[4:5], v[18:19], v[4:5]
	v_add_f64 v[10:11], v[34:35], v[10:11]
	;; [unrolled: 1-line block ×3, first 2 shown]
	v_mul_f64 v[66:67], v[148:149], s[26:27]
	v_add_f64 v[24:25], v[142:143], v[64:65]
	v_add_f64 v[6:7], v[42:43], v[6:7]
	v_add_f64 v[26:27], v[223:224], -v[138:139]
	v_add_f64 v[16:17], v[36:37], v[16:17]
	v_mul_f64 v[20:21], v[184:185], s[44:45]
	v_fma_f64 v[18:19], v[136:137], s[30:31], -v[174:175]
	v_add_f64 v[4:5], v[40:41], v[4:5]
	v_fma_f64 v[22:23], v[136:137], s[30:31], v[174:175]
	v_add_f64 v[10:11], v[46:47], v[10:11]
	v_add_f64 v[8:9], v[44:45], v[8:9]
	v_mul_f64 v[239:240], v[162:163], s[30:31]
	v_mul_f64 v[28:29], v[192:193], s[50:51]
	v_add_f64 v[32:33], v[154:155], v[233:234]
	v_add_f64 v[6:7], v[24:25], v[6:7]
	v_add_f64 v[24:25], v[66:67], -v[150:151]
	v_add_f64 v[16:17], v[26:27], v[16:17]
	v_fma_f64 v[30:31], v[148:149], s[20:21], v[20:21]
	v_fma_f64 v[20:21], v[148:149], s[20:21], -v[20:21]
	v_add_f64 v[4:5], v[18:19], v[4:5]
	v_add_f64 v[22:23], v[22:23], v[132:133]
	v_add_f64 v[10:11], v[54:55], v[10:11]
	v_add_f64 v[8:9], v[52:53], v[8:9]
	v_mul_f64 v[176:177], v[0:1], s[4:5]
	v_mul_f64 v[217:218], v[172:173], s[38:39]
	;; [unrolled: 1-line block ×3, first 2 shown]
	v_fma_f64 v[14:15], v[162:163], s[6:7], v[28:29]
	v_fma_f64 v[18:19], v[162:163], s[6:7], -v[28:29]
	v_add_f64 v[26:27], v[170:171], v[237:238]
	v_add_f64 v[6:7], v[32:33], v[6:7]
	v_add_f64 v[28:29], v[239:240], -v[166:167]
	v_add_f64 v[16:17], v[24:25], v[16:17]
	v_mul_f64 v[12:13], v[198:199], s[48:49]
	v_add_f64 v[4:5], v[20:21], v[4:5]
	v_fma_f64 v[219:220], v[196:197], s[40:41], v[219:220]
	v_add_f64 v[22:23], v[30:31], v[22:23]
	v_add_f64 v[32:33], v[50:51], v[10:11]
	;; [unrolled: 1-line block ×5, first 2 shown]
	v_add_f64 v[26:27], v[217:218], -v[178:179]
	v_add_f64 v[16:17], v[28:29], v[16:17]
	v_fma_f64 v[30:31], v[196:197], s[48:49], v[176:177]
	v_fma_f64 v[20:21], v[172:173], s[4:5], -v[12:13]
	v_add_f64 v[4:5], v[18:19], v[4:5]
	v_add_f64 v[2:3], v[219:220], v[2:3]
	v_fma_f64 v[219:220], v[172:173], s[30:31], -v[221:222]
	v_fma_f64 v[164:165], v[196:197], s[10:11], v[176:177]
	v_fma_f64 v[28:29], v[172:173], s[4:5], v[12:13]
	v_add_f64 v[22:23], v[14:15], v[22:23]
	v_add_f64 v[14:15], v[58:59], v[32:33]
	;; [unrolled: 1-line block ×8, first 2 shown]
	v_mul_lo_u16_e32 v20, 17, v235
	v_add_lshl_u32 v20, v242, v20, 4
	v_add_f64 v[18:19], v[164:165], v[60:61]
	v_add_f64 v[16:17], v[28:29], v[22:23]
	ds_write_b128 v20, v[12:15]
	ds_write_b128 v20, v[8:11] offset:16
	ds_write_b128 v20, v[4:7] offset:32
	;; [unrolled: 1-line block ×16, first 2 shown]
.LBB0_7:
	s_or_b64 exec, exec, s[12:13]
	s_movk_i32 s8, 0xf1
	v_mul_lo_u16_sdwa v0, v235, s8 dst_sel:DWORD dst_unused:UNUSED_PAD src0_sel:BYTE_0 src1_sel:DWORD
	v_lshrrev_b16_e32 v24, 12, v0
	v_add_u16_e32 v2, 0x44, v235
	v_mul_lo_u16_e32 v0, 17, v24
	v_mul_lo_u16_sdwa v3, v2, s8 dst_sel:DWORD dst_unused:UNUSED_PAD src0_sel:BYTE_0 src1_sel:DWORD
	v_sub_u16_e32 v0, v235, v0
	v_lshrrev_b16_e32 v26, 12, v3
	v_and_b32_e32 v25, 0xff, v0
	v_mul_lo_u16_e32 v3, 17, v26
	s_load_dwordx4 s[4:7], s[0:1], 0x0
	v_mad_u64_u32 v[0:1], s[0:1], v25, 48, s[2:3]
	v_sub_u16_e32 v2, v2, v3
	v_and_b32_e32 v27, 0xff, v2
	v_mad_u64_u32 v[3:4], s[0:1], v27, 48, s[2:3]
	v_add_u16_e32 v2, 0x88, v235
	s_waitcnt lgkmcnt(0)
	s_barrier
	global_load_dwordx4 v[36:39], v[0:1], off offset:16
	global_load_dwordx4 v[40:43], v[0:1], off
	global_load_dwordx4 v[44:47], v[3:4], off offset:16
	global_load_dwordx4 v[213:216], v[0:1], off offset:32
	global_load_dwordx4 v[48:51], v[3:4], off
	v_mul_lo_u16_sdwa v0, v2, s8 dst_sel:DWORD dst_unused:UNUSED_PAD src0_sel:BYTE_0 src1_sel:DWORD
	v_lshrrev_b16_e32 v28, 12, v0
	v_mul_lo_u16_e32 v0, 17, v28
	v_sub_u16_e32 v0, v2, v0
	v_and_b32_e32 v29, 0xff, v0
	v_mad_u64_u32 v[5:6], s[0:1], v29, 48, s[2:3]
	v_add_u32_e32 v1, 0xcc, v235
	s_mov_b32 s0, 0xf0f1
	global_load_dwordx4 v[229:232], v[3:4], off offset:32
	global_load_dwordx4 v[237:240], v[5:6], off
	global_load_dwordx4 v[221:224], v[5:6], off offset:16
	v_mul_u32_u24_sdwa v3, v1, s0 dst_sel:DWORD dst_unused:UNUSED_PAD src0_sel:WORD_0 src1_sel:DWORD
	v_lshrrev_b32_e32 v30, 20, v3
	v_mul_lo_u16_e32 v0, 17, v30
	v_sub_u16_e32 v31, v1, v0
	v_mul_lo_u16_e32 v4, 48, v31
	v_mov_b32_e32 v0, s3
	v_add_co_u32_e64 v4, s[0:1], s2, v4
	global_load_dwordx4 v[225:228], v[5:6], off offset:32
	v_addc_co_u32_e64 v5, s[0:1], 0, v0, s[0:1]
	global_load_dwordx4 v[32:35], v[4:5], off
	global_load_dwordx4 v[249:252], v[4:5], off offset:16
	global_load_dwordx4 v[217:220], v[4:5], off offset:32
	v_add_lshl_u32 v255, v242, v235, 4
	ds_read_b128 v[4:7], v255
	ds_read_b128 v[52:55], v255 offset:1088
	ds_read_b128 v[56:59], v255 offset:4352
	;; [unrolled: 1-line block ×15, first 2 shown]
	s_movk_i32 s0, 0x44
	v_lshlrev_b32_e32 v212, 4, v235
	s_waitcnt vmcnt(11) lgkmcnt(11)
	v_mul_f64 v[12:13], v[66:67], v[38:39]
	s_waitcnt vmcnt(10)
	v_mul_f64 v[10:11], v[56:57], v[42:43]
	s_waitcnt vmcnt(9) lgkmcnt(10)
	v_mul_f64 v[114:115], v[68:69], v[46:47]
	v_mul_f64 v[8:9], v[58:59], v[42:43]
	s_waitcnt vmcnt(8) lgkmcnt(9)
	v_mul_f64 v[16:17], v[74:75], v[215:216]
	v_mul_f64 v[112:113], v[70:71], v[46:47]
	;; [unrolled: 1-line block ×4, first 2 shown]
	s_waitcnt vmcnt(7)
	v_mul_f64 v[20:21], v[62:63], v[50:51]
	v_fma_f64 v[10:11], v[58:59], v[40:41], v[10:11]
	v_fma_f64 v[58:59], v[70:71], v[44:45], v[114:115]
	v_mul_f64 v[22:23], v[60:61], v[50:51]
	v_fma_f64 v[16:17], v[72:73], v[213:214], -v[16:17]
	s_waitcnt vmcnt(6) lgkmcnt(8)
	v_mul_f64 v[116:117], v[78:79], v[231:232]
	v_mul_f64 v[118:119], v[76:77], v[231:232]
	s_waitcnt vmcnt(5) lgkmcnt(5)
	v_mul_f64 v[120:121], v[90:91], v[239:240]
	v_mul_f64 v[122:123], v[88:89], v[239:240]
	s_waitcnt vmcnt(4) lgkmcnt(3)
	v_mul_f64 v[124:125], v[98:99], v[223:224]
	v_fma_f64 v[8:9], v[56:57], v[40:41], -v[8:9]
	v_fma_f64 v[12:13], v[64:65], v[36:37], -v[12:13]
	v_fma_f64 v[14:15], v[66:67], v[36:37], v[14:15]
	v_fma_f64 v[18:19], v[74:75], v[213:214], v[18:19]
	v_fma_f64 v[20:21], v[60:61], v[48:49], -v[20:21]
	v_fma_f64 v[22:23], v[62:63], v[48:49], v[22:23]
	s_waitcnt vmcnt(2)
	v_mul_f64 v[70:71], v[94:95], v[34:35]
	v_mul_f64 v[72:73], v[92:93], v[34:35]
	v_fma_f64 v[56:57], v[68:69], v[44:45], -v[112:113]
	v_fma_f64 v[60:61], v[76:77], v[229:230], -v[116:117]
	v_fma_f64 v[62:63], v[78:79], v[229:230], v[118:119]
	v_fma_f64 v[76:77], v[88:89], v[237:238], -v[120:121]
	v_mul_f64 v[64:65], v[96:97], v[223:224]
	s_waitcnt lgkmcnt(1)
	v_mul_f64 v[66:67], v[106:107], v[227:228]
	v_fma_f64 v[92:93], v[92:93], v[32:33], -v[70:71]
	buffer_store_dword v32, off, s[60:63], 0 ; 4-byte Folded Spill
	s_nop 0
	buffer_store_dword v33, off, s[60:63], 0 offset:4 ; 4-byte Folded Spill
	buffer_store_dword v34, off, s[60:63], 0 offset:8 ; 4-byte Folded Spill
	;; [unrolled: 1-line block ×3, first 2 shown]
	v_mul_f64 v[68:69], v[104:105], v[227:228]
	s_waitcnt vmcnt(5)
	v_mul_f64 v[74:75], v[102:103], v[251:252]
	v_mul_f64 v[88:89], v[100:101], v[251:252]
	v_fma_f64 v[78:79], v[90:91], v[237:238], v[122:123]
	v_fma_f64 v[90:91], v[96:97], v[221:222], -v[124:125]
	v_fma_f64 v[96:97], v[98:99], v[221:222], v[64:65]
	v_fma_f64 v[98:99], v[104:105], v[225:226], -v[66:67]
	v_add_f64 v[12:13], v[4:5], -v[12:13]
	v_fma_f64 v[104:105], v[106:107], v[225:226], v[68:69]
	v_fma_f64 v[100:101], v[100:101], v[249:250], -v[74:75]
	v_fma_f64 v[88:89], v[102:103], v[249:250], v[88:89]
	v_add_f64 v[14:15], v[6:7], -v[14:15]
	v_add_f64 v[16:17], v[8:9], -v[16:17]
	;; [unrolled: 1-line block ×6, first 2 shown]
	v_fma_f64 v[60:61], v[4:5], 2.0, -v[12:13]
	s_waitcnt vmcnt(4) lgkmcnt(0)
	v_mul_f64 v[64:65], v[110:111], v[219:220]
	v_mul_f64 v[66:67], v[108:109], v[219:220]
	v_fma_f64 v[4:5], v[8:9], 2.0, -v[16:17]
	v_fma_f64 v[8:9], v[52:53], 2.0, -v[102:103]
	v_add_f64 v[52:53], v[12:13], -v[18:19]
	v_fma_f64 v[20:21], v[20:21], 2.0, -v[74:75]
	v_add_f64 v[74:75], v[106:107], v[74:75]
	s_waitcnt vmcnt(0)
	s_barrier
	v_add_f64 v[4:5], v[60:61], -v[4:5]
	v_add_f64 v[56:57], v[8:9], -v[20:21]
	;; [unrolled: 1-line block ×3, first 2 shown]
	v_fma_f64 v[60:61], v[60:61], 2.0, -v[4:5]
	v_fma_f64 v[68:69], v[8:9], 2.0, -v[56:57]
	v_add_f64 v[8:9], v[80:81], -v[90:91]
	v_fma_f64 v[94:95], v[94:95], v[32:33], v[72:73]
	v_add_f64 v[72:73], v[22:23], -v[62:63]
	v_fma_f64 v[62:63], v[6:7], 2.0, -v[14:15]
	v_fma_f64 v[6:7], v[10:11], 2.0, -v[18:19]
	;; [unrolled: 1-line block ×3, first 2 shown]
	v_add_f64 v[54:55], v[14:15], v[16:17]
	v_fma_f64 v[16:17], v[108:109], v[217:218], -v[64:65]
	v_fma_f64 v[18:19], v[110:111], v[217:218], v[66:67]
	v_fma_f64 v[64:65], v[12:13], 2.0, -v[52:53]
	v_fma_f64 v[22:23], v[22:23], 2.0, -v[72:73]
	v_add_f64 v[12:13], v[76:77], -v[98:99]
	v_add_f64 v[6:7], v[62:63], -v[6:7]
	;; [unrolled: 1-line block ×3, first 2 shown]
	v_fma_f64 v[66:67], v[14:15], 2.0, -v[54:55]
	v_add_f64 v[14:15], v[78:79], -v[104:105]
	v_add_f64 v[16:17], v[92:93], -v[16:17]
	;; [unrolled: 1-line block ×5, first 2 shown]
	v_fma_f64 v[104:105], v[84:85], 2.0, -v[20:21]
	v_fma_f64 v[62:63], v[62:63], 2.0, -v[6:7]
	v_add_f64 v[84:85], v[8:9], -v[14:15]
	v_fma_f64 v[88:89], v[92:93], 2.0, -v[16:17]
	v_fma_f64 v[90:91], v[94:95], 2.0, -v[18:19]
	;; [unrolled: 1-line block ×3, first 2 shown]
	v_add_f64 v[10:11], v[82:83], -v[96:97]
	v_fma_f64 v[96:97], v[80:81], 2.0, -v[8:9]
	v_fma_f64 v[80:81], v[76:77], 2.0, -v[12:13]
	;; [unrolled: 1-line block ×3, first 2 shown]
	v_add_f64 v[92:93], v[20:21], -v[18:19]
	v_add_f64 v[88:89], v[104:105], -v[88:89]
	v_add_f64 v[94:95], v[22:23], v[16:17]
	v_fma_f64 v[100:101], v[8:9], 2.0, -v[84:85]
	v_fma_f64 v[98:99], v[82:83], 2.0, -v[10:11]
	;; [unrolled: 1-line block ×3, first 2 shown]
	v_add_f64 v[80:81], v[96:97], -v[80:81]
	v_add_f64 v[90:91], v[108:109], -v[90:91]
	v_add_f64 v[86:87], v[10:11], v[12:13]
	v_mul_u32_u24_e32 v8, 0x44, v24
	v_add_u32_e32 v8, v8, v25
	v_add_lshl_u32 v233, v242, v8, 4
	ds_write_b128 v233, v[60:63]
	ds_write_b128 v233, v[64:67] offset:272
	ds_write_b128 v233, v[4:7] offset:544
	;; [unrolled: 1-line block ×3, first 2 shown]
	v_add_f64 v[82:83], v[98:99], -v[82:83]
	v_mul_u32_u24_e32 v4, 0x44, v26
	v_fma_f64 v[78:79], v[106:107], 2.0, -v[74:75]
	v_fma_f64 v[96:97], v[96:97], 2.0, -v[80:81]
	;; [unrolled: 1-line block ×4, first 2 shown]
	v_add_u32_e32 v4, v4, v27
	v_fma_f64 v[76:77], v[102:103], 2.0, -v[72:73]
	v_fma_f64 v[98:99], v[98:99], 2.0, -v[82:83]
	;; [unrolled: 1-line block ×5, first 2 shown]
	v_add_lshl_u32 v234, v242, v4, 4
	v_mul_u32_u24_e32 v4, 0x44, v28
	v_add_u32_e32 v4, v4, v29
	v_add_lshl_u32 v253, v242, v4, 4
	v_mad_legacy_u16 v4, v30, s0, v31
	v_add_lshl_u32 v254, v242, v4, 4
	v_mad_u64_u32 v[4:5], s[0:1], v235, 48, s[2:3]
	s_movk_i32 s0, 0x79
	ds_write_b128 v234, v[68:71]
	ds_write_b128 v234, v[76:79] offset:272
	ds_write_b128 v234, v[56:59] offset:544
	ds_write_b128 v234, v[72:75] offset:816
	ds_write_b128 v253, v[96:99]
	ds_write_b128 v253, v[100:103] offset:272
	ds_write_b128 v253, v[80:83] offset:544
	ds_write_b128 v253, v[84:87] offset:816
	;; [unrolled: 4-line block ×3, first 2 shown]
	s_waitcnt lgkmcnt(0)
	s_barrier
	global_load_dwordx4 v[60:63], v[4:5], off offset:816
	global_load_dwordx4 v[56:59], v[4:5], off offset:832
	;; [unrolled: 1-line block ×3, first 2 shown]
	v_mul_lo_u16_sdwa v4, v2, s0 dst_sel:DWORD dst_unused:UNUSED_PAD src0_sel:BYTE_0 src1_sel:DWORD
	v_lshrrev_b16_e32 v4, 13, v4
	v_mul_lo_u16_e32 v4, 0x44, v4
	v_sub_u16_e32 v2, v2, v4
	v_and_b32_e32 v23, 0xff, v2
	v_mad_u64_u32 v[4:5], s[0:1], v23, 48, s[2:3]
	global_load_dwordx4 v[68:71], v[4:5], off offset:816
	global_load_dwordx4 v[29:32], v[4:5], off offset:848
	;; [unrolled: 1-line block ×3, first 2 shown]
	v_lshrrev_b32_e32 v2, 22, v3
	v_mul_lo_u16_e32 v2, 0x44, v2
	v_sub_u16_e32 v24, v1, v2
	v_mul_lo_u16_e32 v1, 48, v24
	v_add_co_u32_e64 v1, s[0:1], s2, v1
	v_addc_co_u32_e64 v2, s[0:1], 0, v0, s[0:1]
	global_load_dwordx4 v[84:87], v[1:2], off offset:816
	global_load_dwordx4 v[80:83], v[1:2], off offset:832
	;; [unrolled: 1-line block ×3, first 2 shown]
	ds_read_b128 v[1:4], v255
	ds_read_b128 v[88:91], v255 offset:1088
	ds_read_b128 v[92:95], v255 offset:4352
	;; [unrolled: 1-line block ×15, first 2 shown]
	s_waitcnt vmcnt(8) lgkmcnt(13)
	v_mul_f64 v[7:8], v[92:93], v[62:63]
	s_waitcnt vmcnt(7) lgkmcnt(11)
	v_mul_f64 v[11:12], v[100:101], v[58:59]
	v_mul_f64 v[5:6], v[94:95], v[62:63]
	;; [unrolled: 1-line block ×3, first 2 shown]
	s_waitcnt vmcnt(6) lgkmcnt(9)
	v_mul_f64 v[13:14], v[110:111], v[54:55]
	v_mul_f64 v[15:16], v[108:109], v[54:55]
	;; [unrolled: 1-line block ×4, first 2 shown]
	v_fma_f64 v[7:8], v[94:95], v[60:61], v[7:8]
	v_fma_f64 v[11:12], v[102:103], v[56:57], v[11:12]
	s_waitcnt lgkmcnt(8)
	v_mul_f64 v[94:95], v[114:115], v[54:55]
	s_waitcnt vmcnt(5) lgkmcnt(5)
	v_mul_f64 v[102:103], v[126:127], v[70:71]
	v_fma_f64 v[9:10], v[100:101], v[56:57], -v[9:10]
	v_fma_f64 v[13:14], v[108:109], v[52:53], -v[13:14]
	v_mul_f64 v[100:101], v[112:113], v[54:55]
	v_mul_f64 v[108:109], v[124:125], v[70:71]
	v_fma_f64 v[19:20], v[98:99], v[60:61], v[19:20]
	s_waitcnt vmcnt(3) lgkmcnt(3)
	v_mul_f64 v[98:99], v[134:135], v[66:67]
	v_fma_f64 v[94:95], v[112:113], v[52:53], -v[94:95]
	v_fma_f64 v[112:113], v[124:125], v[68:69], -v[102:103]
	buffer_store_dword v68, off, s[60:63], 0 offset:64 ; 4-byte Folded Spill
	s_nop 0
	buffer_store_dword v69, off, s[60:63], 0 offset:68 ; 4-byte Folded Spill
	buffer_store_dword v70, off, s[60:63], 0 offset:72 ; 4-byte Folded Spill
	;; [unrolled: 1-line block ×3, first 2 shown]
	v_fma_f64 v[17:18], v[96:97], v[60:61], -v[17:18]
	v_fma_f64 v[96:97], v[114:115], v[52:53], v[100:101]
	v_mul_f64 v[100:101], v[132:133], v[66:67]
	v_fma_f64 v[5:6], v[92:93], v[60:61], -v[5:6]
	v_mul_f64 v[92:93], v[104:105], v[58:59]
	v_fma_f64 v[15:16], v[110:111], v[52:53], v[15:16]
	s_waitcnt vmcnt(5) lgkmcnt(2)
	v_mul_f64 v[124:125], v[136:137], v[82:83]
	v_mul_f64 v[21:22], v[106:107], v[58:59]
	s_waitcnt lgkmcnt(1)
	v_mul_f64 v[102:103], v[142:143], v[31:32]
	v_mul_f64 v[110:111], v[138:139], v[82:83]
	v_add_f64 v[9:10], v[1:2], -v[9:10]
	v_add_f64 v[11:12], v[3:4], -v[11:12]
	v_fma_f64 v[92:93], v[106:107], v[56:57], v[92:93]
	v_add_f64 v[13:14], v[5:6], -v[13:14]
	v_fma_f64 v[124:125], v[138:139], v[80:81], v[124:125]
	v_add_f64 v[15:16], v[7:8], -v[15:16]
	v_fma_f64 v[21:22], v[104:105], v[56:57], -v[21:22]
	v_mul_f64 v[104:105], v[140:141], v[31:32]
	v_mul_f64 v[106:107], v[130:131], v[86:87]
	v_fma_f64 v[136:137], v[136:137], v[80:81], -v[110:111]
	v_add_f64 v[138:139], v[90:91], -v[92:93]
	v_add_f64 v[110:111], v[17:18], -v[94:95]
	;; [unrolled: 1-line block ×3, first 2 shown]
	v_fma_f64 v[17:18], v[17:18], 2.0, -v[110:111]
	v_add_f64 v[110:111], v[138:139], v[110:111]
	v_fma_f64 v[114:115], v[126:127], v[68:69], v[108:109]
	v_fma_f64 v[126:127], v[132:133], v[64:65], -v[98:99]
	buffer_store_dword v64, off, s[60:63], 0 offset:48 ; 4-byte Folded Spill
	s_nop 0
	buffer_store_dword v65, off, s[60:63], 0 offset:52 ; 4-byte Folded Spill
	buffer_store_dword v66, off, s[60:63], 0 offset:56 ; 4-byte Folded Spill
	;; [unrolled: 1-line block ×3, first 2 shown]
	v_mul_f64 v[108:109], v[128:129], v[86:87]
	v_fma_f64 v[98:99], v[3:4], 2.0, -v[11:12]
	v_fma_f64 v[3:4], v[7:8], 2.0, -v[15:16]
	;; [unrolled: 1-line block ×3, first 2 shown]
	v_add_f64 v[90:91], v[11:12], v[13:14]
	v_fma_f64 v[128:129], v[128:129], v[84:85], -v[106:107]
	v_fma_f64 v[130:131], v[130:131], v[84:85], v[108:109]
	v_add_f64 v[108:109], v[19:20], -v[96:97]
	v_fma_f64 v[96:97], v[1:2], 2.0, -v[9:10]
	v_fma_f64 v[1:2], v[5:6], 2.0, -v[13:14]
	;; [unrolled: 1-line block ×3, first 2 shown]
	v_add_f64 v[88:89], v[9:10], -v[15:16]
	v_add_f64 v[3:4], v[98:99], -v[3:4]
	v_fma_f64 v[19:20], v[19:20], 2.0, -v[108:109]
	v_add_f64 v[108:109], v[21:22], -v[108:109]
	v_add_f64 v[1:2], v[96:97], -v[1:2]
	;; [unrolled: 1-line block ×4, first 2 shown]
	v_fma_f64 v[98:99], v[98:99], 2.0, -v[3:4]
	v_add_f64 v[94:95], v[7:8], -v[19:20]
	v_add_f64 v[19:20], v[122:123], -v[124:125]
	v_fma_f64 v[96:97], v[96:97], 2.0, -v[1:2]
	v_fma_f64 v[106:107], v[7:8], 2.0, -v[94:95]
	v_fma_f64 v[132:133], v[134:135], v[64:65], v[100:101]
	s_waitcnt vmcnt(8) lgkmcnt(0)
	v_mul_f64 v[100:101], v[146:147], v[27:28]
	v_fma_f64 v[134:135], v[140:141], v[29:30], -v[102:103]
	buffer_store_dword v29, off, s[60:63], 0 offset:32 ; 4-byte Folded Spill
	s_nop 0
	buffer_store_dword v30, off, s[60:63], 0 offset:36 ; 4-byte Folded Spill
	buffer_store_dword v31, off, s[60:63], 0 offset:40 ; 4-byte Folded Spill
	;; [unrolled: 1-line block ×3, first 2 shown]
	v_mul_f64 v[102:103], v[144:145], v[27:28]
	v_add_f64 v[7:8], v[118:119], -v[132:133]
	v_fma_f64 v[13:14], v[144:145], v[25:26], -v[100:101]
	buffer_store_dword v25, off, s[60:63], 0 offset:16 ; 4-byte Folded Spill
	s_nop 0
	buffer_store_dword v26, off, s[60:63], 0 offset:20 ; 4-byte Folded Spill
	buffer_store_dword v27, off, s[60:63], 0 offset:24 ; 4-byte Folded Spill
	;; [unrolled: 1-line block ×3, first 2 shown]
	v_fma_f64 v[100:101], v[9:10], 2.0, -v[88:89]
	v_add_f64 v[9:10], v[112:113], -v[134:135]
	s_waitcnt vmcnt(0)
	s_barrier
	v_fma_f64 v[134:135], v[118:119], 2.0, -v[7:8]
	v_add_f64 v[13:14], v[128:129], -v[13:14]
	v_fma_f64 v[124:125], v[128:129], 2.0, -v[13:14]
	v_fma_f64 v[140:141], v[142:143], v[29:30], v[104:105]
	v_fma_f64 v[104:105], v[5:6], 2.0, -v[92:93]
	v_add_f64 v[5:6], v[116:117], -v[126:127]
	v_fma_f64 v[142:143], v[122:123], 2.0, -v[19:20]
	v_add_f64 v[122:123], v[7:8], v[9:10]
	v_fma_f64 v[15:16], v[146:147], v[25:26], v[102:103]
	v_fma_f64 v[102:103], v[11:12], 2.0, -v[90:91]
	v_add_f64 v[11:12], v[114:115], -v[140:141]
	v_fma_f64 v[132:133], v[116:117], 2.0, -v[5:6]
	v_fma_f64 v[116:117], v[112:113], 2.0, -v[9:10]
	;; [unrolled: 1-line block ×4, first 2 shown]
	v_add_f64 v[15:16], v[130:131], -v[15:16]
	v_fma_f64 v[118:119], v[114:115], 2.0, -v[11:12]
	v_add_f64 v[120:121], v[5:6], -v[11:12]
	v_add_f64 v[116:117], v[132:133], -v[116:117]
	;; [unrolled: 1-line block ×3, first 2 shown]
	v_fma_f64 v[114:115], v[138:139], 2.0, -v[110:111]
	v_fma_f64 v[138:139], v[7:8], 2.0, -v[122:123]
	;; [unrolled: 1-line block ×3, first 2 shown]
	v_add_f64 v[128:129], v[17:18], -v[15:16]
	v_add_f64 v[118:119], v[134:135], -v[118:119]
	v_add_f64 v[130:131], v[19:20], v[13:14]
	v_fma_f64 v[132:133], v[132:133], 2.0, -v[116:117]
	v_fma_f64 v[136:137], v[5:6], 2.0, -v[120:121]
	;; [unrolled: 1-line block ×3, first 2 shown]
	ds_write_b128 v255, v[96:99]
	ds_write_b128 v255, v[100:103] offset:1088
	ds_write_b128 v255, v[1:4] offset:2176
	;; [unrolled: 1-line block ×7, first 2 shown]
	v_add_f64 v[126:127], v[142:143], -v[126:127]
	v_fma_f64 v[144:145], v[17:18], 2.0, -v[128:129]
	v_fma_f64 v[134:135], v[134:135], 2.0, -v[118:119]
	;; [unrolled: 1-line block ×3, first 2 shown]
	v_add_lshl_u32 v1, v242, v23, 4
	ds_write_b128 v1, v[132:135] offset:8704
	ds_write_b128 v1, v[136:139] offset:9792
	;; [unrolled: 1-line block ×3, first 2 shown]
	v_fma_f64 v[142:143], v[142:143], 2.0, -v[126:127]
	buffer_store_dword v1, off, s[60:63], 0 offset:80 ; 4-byte Folded Spill
	ds_write_b128 v1, v[120:123] offset:11968
	v_add_lshl_u32 v1, v242, v24, 4
	v_add_co_u32_e64 v24, s[0:1], s2, v212
	v_addc_co_u32_e64 v25, s[0:1], 0, v0, s[0:1]
	s_movk_i32 s0, 0x1000
	v_add_co_u32_e64 v0, s[0:1], s0, v24
	ds_write_b128 v1, v[140:143] offset:13056
	ds_write_b128 v1, v[144:147] offset:14144
	;; [unrolled: 1-line block ×3, first 2 shown]
	buffer_store_dword v1, off, s[60:63], 0 offset:84 ; 4-byte Folded Spill
	ds_write_b128 v1, v[128:131] offset:16320
	v_addc_co_u32_e64 v1, s[0:1], 0, v25, s[0:1]
	s_waitcnt vmcnt(0) lgkmcnt(0)
	s_barrier
	global_load_dwordx4 v[88:91], v212, s[2:3] offset:4080
	global_load_dwordx4 v[92:95], v[0:1], off offset:1072
	global_load_dwordx4 v[96:99], v[0:1], off offset:2160
	;; [unrolled: 1-line block ×3, first 2 shown]
	ds_read_b128 v[0:3], v255
	ds_read_b128 v[4:7], v255 offset:1088
	ds_read_b128 v[104:107], v255 offset:8704
	;; [unrolled: 1-line block ×15, first 2 shown]
	s_movk_i32 s0, 0x2000
	s_waitcnt vmcnt(0) lgkmcnt(0)
	s_barrier
	v_mul_f64 v[12:13], v[110:111], v[94:95]
	v_mul_f64 v[8:9], v[106:107], v[90:91]
	;; [unrolled: 1-line block ×8, first 2 shown]
	v_fma_f64 v[12:13], v[108:109], v[92:93], -v[12:13]
	v_fma_f64 v[8:9], v[104:105], v[88:89], -v[8:9]
	v_fma_f64 v[10:11], v[106:107], v[88:89], v[10:11]
	v_fma_f64 v[14:15], v[110:111], v[92:93], v[14:15]
	v_fma_f64 v[16:17], v[120:121], v[96:97], -v[16:17]
	v_fma_f64 v[18:19], v[122:123], v[96:97], v[18:19]
	v_fma_f64 v[20:21], v[124:125], v[100:101], -v[20:21]
	v_fma_f64 v[22:23], v[126:127], v[100:101], v[22:23]
	v_mul_f64 v[104:105], v[138:139], v[90:91]
	v_mul_f64 v[106:107], v[136:137], v[90:91]
	;; [unrolled: 1-line block ×8, first 2 shown]
	v_fma_f64 v[136:137], v[136:137], v[88:89], -v[104:105]
	v_fma_f64 v[138:139], v[138:139], v[88:89], v[106:107]
	v_fma_f64 v[140:141], v[140:141], v[92:93], -v[108:109]
	v_fma_f64 v[142:143], v[142:143], v[92:93], v[110:111]
	;; [unrolled: 2-line block ×4, first 2 shown]
	v_add_f64 v[104:105], v[0:1], -v[8:9]
	v_add_f64 v[106:107], v[2:3], -v[10:11]
	;; [unrolled: 1-line block ×8, first 2 shown]
	v_fma_f64 v[0:1], v[0:1], 2.0, -v[104:105]
	v_fma_f64 v[2:3], v[2:3], 2.0, -v[106:107]
	v_add_f64 v[136:137], v[128:129], -v[136:137]
	v_add_f64 v[138:139], v[130:131], -v[138:139]
	;; [unrolled: 1-line block ×8, first 2 shown]
	v_fma_f64 v[4:5], v[4:5], 2.0, -v[108:109]
	v_fma_f64 v[6:7], v[6:7], 2.0, -v[110:111]
	;; [unrolled: 1-line block ×14, first 2 shown]
	ds_write_b128 v255, v[0:3]
	ds_write_b128 v255, v[104:107] offset:4352
	ds_write_b128 v255, v[4:7] offset:1088
	;; [unrolled: 1-line block ×15, first 2 shown]
	v_add_co_u32_e64 v0, s[0:1], s0, v24
	v_addc_co_u32_e64 v1, s[0:1], 0, v25, s[0:1]
	s_waitcnt lgkmcnt(0)
	s_barrier
	global_load_dwordx4 v[104:107], v[0:1], off offset:240
	global_load_dwordx4 v[108:111], v[0:1], off offset:1328
	;; [unrolled: 1-line block ×4, first 2 shown]
	s_movk_i32 s0, 0x3000
	v_add_co_u32_e64 v0, s[0:1], s0, v24
	v_addc_co_u32_e64 v1, s[0:1], 0, v25, s[0:1]
	global_load_dwordx4 v[120:123], v[0:1], off offset:496
	global_load_dwordx4 v[124:127], v[0:1], off offset:1584
	;; [unrolled: 1-line block ×4, first 2 shown]
	ds_read_b128 v[0:3], v255
	ds_read_b128 v[4:7], v255 offset:1088
	ds_read_b128 v[136:139], v255 offset:8704
	;; [unrolled: 1-line block ×15, first 2 shown]
	s_waitcnt vmcnt(7) lgkmcnt(13)
	v_mul_f64 v[8:9], v[138:139], v[106:107]
	v_mul_f64 v[10:11], v[136:137], v[106:107]
	s_waitcnt vmcnt(6) lgkmcnt(12)
	v_mul_f64 v[12:13], v[142:143], v[110:111]
	v_mul_f64 v[14:15], v[140:141], v[110:111]
	;; [unrolled: 3-line block ×4, first 2 shown]
	v_fma_f64 v[8:9], v[136:137], v[104:105], -v[8:9]
	v_fma_f64 v[10:11], v[138:139], v[104:105], v[10:11]
	v_fma_f64 v[12:13], v[140:141], v[108:109], -v[12:13]
	v_fma_f64 v[14:15], v[142:143], v[108:109], v[14:15]
	;; [unrolled: 2-line block ×4, first 2 shown]
	s_waitcnt vmcnt(3) lgkmcnt(5)
	v_mul_f64 v[136:137], v[154:155], v[122:123]
	v_mul_f64 v[138:139], v[152:153], v[122:123]
	s_waitcnt vmcnt(2) lgkmcnt(4)
	v_mul_f64 v[140:141], v[162:163], v[126:127]
	v_mul_f64 v[142:143], v[160:161], v[126:127]
	;; [unrolled: 3-line block ×4, first 2 shown]
	v_fma_f64 v[176:177], v[152:153], v[120:121], -v[136:137]
	v_fma_f64 v[178:179], v[154:155], v[120:121], v[138:139]
	v_fma_f64 v[192:193], v[160:161], v[124:125], -v[140:141]
	v_fma_f64 v[194:195], v[162:163], v[124:125], v[142:143]
	;; [unrolled: 2-line block ×4, first 2 shown]
	v_add_f64 v[140:141], v[0:1], -v[8:9]
	v_add_f64 v[142:143], v[2:3], -v[10:11]
	;; [unrolled: 1-line block ×16, first 2 shown]
	v_fma_f64 v[136:137], v[0:1], 2.0, -v[140:141]
	v_fma_f64 v[138:139], v[2:3], 2.0, -v[142:143]
	;; [unrolled: 1-line block ×16, first 2 shown]
	v_lshl_add_u32 v203, v235, 4, v244
	v_add_u32_e32 v0, v212, v244
	ds_write_b128 v203, v[136:139]
	ds_write_b128 v203, v[140:143] offset:8704
	ds_write_b128 v203, v[152:155] offset:1088
	;; [unrolled: 1-line block ×15, first 2 shown]
	s_waitcnt lgkmcnt(0)
	s_barrier
	s_and_saveexec_b64 s[0:1], vcc
	s_cbranch_execz .LBB0_9
; %bb.8:
	s_add_u32 s2, s16, 0x4400
	s_addc_u32 s3, s17, 0
	global_load_dwordx4 v[204:207], v202, s[2:3]
	ds_read_b128 v[1:4], v243
	s_waitcnt vmcnt(0) lgkmcnt(0)
	v_mul_f64 v[5:6], v[3:4], v[206:207]
	v_fma_f64 v[208:209], v[1:2], v[204:205], -v[5:6]
	v_mul_f64 v[1:2], v[1:2], v[206:207]
	v_fma_f64 v[210:211], v[3:4], v[204:205], v[1:2]
	global_load_dwordx4 v[204:207], v202, s[2:3] offset:1024
	ds_write_b128 v243, v[208:211]
	ds_read_b128 v[1:4], v203 offset:1024
	s_waitcnt vmcnt(0) lgkmcnt(0)
	v_mul_f64 v[5:6], v[3:4], v[206:207]
	v_fma_f64 v[208:209], v[1:2], v[204:205], -v[5:6]
	v_mul_f64 v[1:2], v[1:2], v[206:207]
	v_fma_f64 v[210:211], v[3:4], v[204:205], v[1:2]
	global_load_dwordx4 v[204:207], v202, s[2:3] offset:2048
	ds_read_b128 v[1:4], v203 offset:2048
	ds_write_b128 v203, v[208:211] offset:1024
	s_waitcnt vmcnt(0) lgkmcnt(1)
	v_mul_f64 v[5:6], v[3:4], v[206:207]
	v_fma_f64 v[208:209], v[1:2], v[204:205], -v[5:6]
	v_mul_f64 v[1:2], v[1:2], v[206:207]
	v_fma_f64 v[210:211], v[3:4], v[204:205], v[1:2]
	global_load_dwordx4 v[204:207], v202, s[2:3] offset:3072
	ds_read_b128 v[1:4], v203 offset:3072
	ds_write_b128 v203, v[208:211] offset:2048
	s_waitcnt vmcnt(0) lgkmcnt(1)
	v_mul_f64 v[5:6], v[3:4], v[206:207]
	v_fma_f64 v[208:209], v[1:2], v[204:205], -v[5:6]
	v_mul_f64 v[1:2], v[1:2], v[206:207]
	v_or_b32_e32 v5, 0x1000, v202
	v_fma_f64 v[210:211], v[3:4], v[204:205], v[1:2]
	global_load_dwordx4 v[204:207], v5, s[2:3]
	ds_read_b128 v[1:4], v203 offset:4096
	ds_write_b128 v203, v[208:211] offset:3072
	s_waitcnt vmcnt(0) lgkmcnt(1)
	v_mul_f64 v[5:6], v[3:4], v[206:207]
	v_fma_f64 v[208:209], v[1:2], v[204:205], -v[5:6]
	v_mul_f64 v[1:2], v[1:2], v[206:207]
	v_or_b32_e32 v5, 0x1400, v202
	v_fma_f64 v[210:211], v[3:4], v[204:205], v[1:2]
	global_load_dwordx4 v[204:207], v5, s[2:3]
	;; [unrolled: 9-line block ×13, first 2 shown]
	ds_read_b128 v[1:4], v203 offset:16384
	ds_write_b128 v203, v[208:211] offset:15360
	s_waitcnt vmcnt(0) lgkmcnt(1)
	v_mul_f64 v[5:6], v[3:4], v[206:207]
	v_fma_f64 v[208:209], v[1:2], v[204:205], -v[5:6]
	v_mul_f64 v[1:2], v[1:2], v[206:207]
	v_fma_f64 v[210:211], v[3:4], v[204:205], v[1:2]
	ds_write_b128 v203, v[208:211] offset:16384
.LBB0_9:
	s_or_b64 exec, exec, s[0:1]
	s_waitcnt lgkmcnt(0)
	s_barrier
	s_and_saveexec_b64 s[0:1], vcc
	s_cbranch_execz .LBB0_11
; %bb.10:
	ds_read_b128 v[136:139], v243
	ds_read_b128 v[140:143], v203 offset:1024
	ds_read_b128 v[152:155], v203 offset:2048
	;; [unrolled: 1-line block ×16, first 2 shown]
.LBB0_11:
	s_or_b64 exec, exec, s[0:1]
	v_add_u32_e32 v201, 0x1980, v0
	v_add_u32_e32 v200, 0x1dc0, v0
	s_waitcnt lgkmcnt(0)
	s_barrier
	s_and_saveexec_b64 s[0:1], vcc
	s_cbranch_execz .LBB0_13
; %bb.12:
	buffer_store_dword v237, off, s[60:63], 0 offset:240 ; 4-byte Folded Spill
	s_nop 0
	buffer_store_dword v238, off, s[60:63], 0 offset:244 ; 4-byte Folded Spill
	buffer_store_dword v239, off, s[60:63], 0 offset:248 ; 4-byte Folded Spill
	;; [unrolled: 1-line block ×3, first 2 shown]
	v_add_f64 v[237:238], v[182:183], v[170:171]
	v_mov_b32_e32 v24, v245
	v_mov_b32_e32 v25, v246
	;; [unrolled: 1-line block ×4, first 2 shown]
	buffer_store_dword v200, off, s[60:63], 0 offset:288 ; 4-byte Folded Spill
	buffer_store_dword v201, off, s[60:63], 0 offset:292 ; 4-byte Folded Spill
	buffer_store_dword v242, off, s[60:63], 0 offset:92 ; 4-byte Folded Spill
	buffer_store_dword v249, off, s[60:63], 0 offset:256 ; 4-byte Folded Spill
	s_nop 0
	buffer_store_dword v250, off, s[60:63], 0 offset:260 ; 4-byte Folded Spill
	buffer_store_dword v251, off, s[60:63], 0 offset:264 ; 4-byte Folded Spill
	buffer_store_dword v252, off, s[60:63], 0 offset:268 ; 4-byte Folded Spill
	buffer_store_dword v236, off, s[60:63], 0 offset:272 ; 4-byte Folded Spill
	s_nop 0
	;; [unrolled: 5-line block ×3, first 2 shown]
	buffer_store_dword v25, off, s[60:63], 0 offset:304 ; 4-byte Folded Spill
	buffer_store_dword v26, off, s[60:63], 0 offset:308 ; 4-byte Folded Spill
	;; [unrolled: 1-line block ×3, first 2 shown]
	v_add_f64 v[0:1], v[180:181], -v[168:169]
	v_add_f64 v[200:201], v[140:141], -v[245:246]
	s_mov_b32 s50, 0xeb564b22
	s_mov_b32 s12, 0xacd6c6b4
	;; [unrolled: 1-line block ×4, first 2 shown]
	v_add_f64 v[239:240], v[152:153], -v[192:193]
	s_mov_b32 s38, 0x5d8e7cdc
	v_mov_b32_e32 v67, v1
	v_mul_f64 v[8:9], v[0:1], s[50:51]
	v_mov_b32_e32 v66, v0
	v_mul_f64 v[2:3], v[200:201], s[12:13]
	v_add_f64 v[0:1], v[247:248], v[142:143]
	s_mov_b32 s2, 0x7faef3
	s_mov_b32 s39, 0x3fd71e95
	;; [unrolled: 1-line block ×3, first 2 shown]
	v_add_f64 v[241:242], v[144:145], -v[196:197]
	v_mul_f64 v[4:5], v[239:240], s[38:39]
	v_add_f64 v[251:252], v[194:195], v[154:155]
	s_mov_b32 s22, 0x4363dd80
	v_fma_f64 v[6:7], v[0:1], s[2:3], v[2:3]
	s_mov_b32 s14, 0x370991
	s_mov_b32 s23, 0xbfe0d888
	;; [unrolled: 1-line block ×3, first 2 shown]
	v_add_f64 v[70:71], v[156:157], -v[176:177]
	v_mul_f64 v[10:11], v[241:242], s[22:23]
	v_add_f64 v[253:254], v[146:147], v[198:199]
	v_fma_f64 v[12:13], v[251:252], s[14:15], v[4:5]
	v_add_f64 v[6:7], v[138:139], v[6:7]
	s_mov_b32 s46, 0x2a9d6da3
	s_mov_b32 s8, 0x910ea3b9
	v_add_f64 v[18:19], v[148:149], -v[188:189]
	s_mov_b32 s47, 0x3fe58eea
	s_mov_b32 s9, 0xbfeb34fa
	v_mul_f64 v[14:15], v[70:71], s[46:47]
	v_add_f64 v[249:250], v[158:159], v[178:179]
	v_fma_f64 v[16:17], v[253:254], s[8:9], v[10:11]
	v_add_f64 v[6:7], v[12:13], v[6:7]
	s_mov_b32 s24, 0x6c9a05f6
	s_mov_b32 s20, 0x75d4884
	v_add_f64 v[20:21], v[164:165], -v[172:173]
	s_mov_b32 s25, 0xbfe9895b
	v_mov_b32_e32 v75, v19
	s_mov_b32 s21, 0x3fe7a5f6
	v_mul_f64 v[12:13], v[18:19], s[24:25]
	v_mov_b32_e32 v74, v18
	v_add_f64 v[247:248], v[190:191], v[150:151]
	v_fma_f64 v[18:19], v[249:250], s[20:21], v[14:15]
	v_add_f64 v[6:7], v[16:17], v[6:7]
	s_mov_b32 s42, 0x7c9e640b
	s_mov_b32 s10, 0x6ed5f1bb
	;; [unrolled: 1-line block ×3, first 2 shown]
	v_mov_b32_e32 v73, v21
	s_mov_b32 s11, 0xbfe348c8
	v_mul_f64 v[16:17], v[20:21], s[42:43]
	v_mov_b32_e32 v72, v20
	v_add_f64 v[245:246], v[174:175], v[166:167]
	v_fma_f64 v[20:21], v[247:248], s[10:11], v[12:13]
	v_add_f64 v[6:7], v[18:19], v[6:7]
	s_mov_b32 s34, 0x2b2883cd
	s_mov_b32 s35, 0x3fdc86fa
	buffer_store_dword v243, off, s[60:63], 0 offset:88 ; 4-byte Folded Spill
	buffer_store_dword v244, off, s[60:63], 0 offset:296 ; 4-byte Folded Spill
	buffer_store_dword v225, off, s[60:63], 0 offset:208 ; 4-byte Folded Spill
	s_nop 0
	buffer_store_dword v226, off, s[60:63], 0 offset:212 ; 4-byte Folded Spill
	buffer_store_dword v227, off, s[60:63], 0 offset:216 ; 4-byte Folded Spill
	buffer_store_dword v228, off, s[60:63], 0 offset:220 ; 4-byte Folded Spill
	buffer_store_dword v229, off, s[60:63], 0 offset:224 ; 4-byte Folded Spill
	s_nop 0
	buffer_store_dword v230, off, s[60:63], 0 offset:228 ; 4-byte Folded Spill
	;; [unrolled: 5-line block ×3, first 2 shown]
	buffer_store_dword v223, off, s[60:63], 0 offset:200 ; 4-byte Folded Spill
	buffer_store_dword v224, off, s[60:63], 0 offset:204 ; 4-byte Folded Spill
	v_fma_f64 v[22:23], v[245:246], s[34:35], v[16:17]
	v_add_f64 v[30:31], v[146:147], -v[198:199]
	v_add_f64 v[6:7], v[20:21], v[6:7]
	buffer_store_dword v235, off, s[60:63], 0 offset:332 ; 4-byte Folded Spill
	v_add_f64 v[204:205], v[192:193], v[152:153]
	buffer_store_dword v217, off, s[60:63], 0 offset:176 ; 4-byte Folded Spill
	s_nop 0
	buffer_store_dword v218, off, s[60:63], 0 offset:180 ; 4-byte Folded Spill
	buffer_store_dword v219, off, s[60:63], 0 offset:184 ; 4-byte Folded Spill
	;; [unrolled: 1-line block ×3, first 2 shown]
	v_fma_f64 v[220:221], v[0:1], s[2:3], -v[2:3]
	buffer_store_dword v44, off, s[60:63], 0 offset:96 ; 4-byte Folded Spill
	s_nop 0
	buffer_store_dword v45, off, s[60:63], 0 offset:100 ; 4-byte Folded Spill
	buffer_store_dword v46, off, s[60:63], 0 offset:104 ; 4-byte Folded Spill
	;; [unrolled: 1-line block ×3, first 2 shown]
	v_add_f64 v[34:35], v[158:159], -v[178:179]
	buffer_store_dword v213, off, s[60:63], 0 offset:160 ; 4-byte Folded Spill
	s_nop 0
	buffer_store_dword v214, off, s[60:63], 0 offset:164 ; 4-byte Folded Spill
	buffer_store_dword v215, off, s[60:63], 0 offset:168 ; 4-byte Folded Spill
	;; [unrolled: 1-line block ×3, first 2 shown]
	v_add_f64 v[22:23], v[22:23], v[6:7]
	v_mov_b32_e32 v2, v30
	v_add_f64 v[28:29], v[142:143], -v[26:27]
	v_add_f64 v[26:27], v[154:155], -v[194:195]
	v_add_f64 v[208:209], v[24:25], v[140:141]
	v_add_f64 v[216:217], v[144:145], v[196:197]
	v_mov_b32_e32 v3, v31
	v_fma_f64 v[4:5], v[251:252], s[14:15], -v[4:5]
	v_add_f64 v[220:221], v[138:139], v[220:221]
	v_mov_b32_e32 v219, v35
	v_mul_f64 v[20:21], v[28:29], s[12:13]
	v_mov_b32_e32 v236, v27
	v_mul_f64 v[6:7], v[26:27], s[38:39]
	v_mov_b32_e32 v235, v26
	v_mov_b32_e32 v77, v29
	;; [unrolled: 1-line block ×3, first 2 shown]
	v_mul_f64 v[28:29], v[30:31], s[22:23]
	v_add_f64 v[226:227], v[150:151], -v[190:191]
	v_fma_f64 v[26:27], v[208:209], s[2:3], -v[20:21]
	v_fma_f64 v[20:21], v[208:209], s[2:3], v[20:21]
	v_fma_f64 v[30:31], v[204:205], s[14:15], -v[6:7]
	v_add_f64 v[230:231], v[156:157], v[176:177]
	v_mul_f64 v[32:33], v[34:35], s[46:47]
	v_mov_b32_e32 v218, v34
	v_fma_f64 v[34:35], v[216:217], s[8:9], -v[28:29]
	v_fma_f64 v[10:11], v[253:254], s[8:9], -v[10:11]
	v_add_f64 v[26:27], v[136:137], v[26:27]
	v_add_f64 v[4:5], v[4:5], v[220:221]
	v_fma_f64 v[6:7], v[204:205], s[14:15], v[6:7]
	v_add_f64 v[20:21], v[136:137], v[20:21]
	v_add_f64 v[228:229], v[166:167], -v[174:175]
	v_add_f64 v[224:225], v[188:189], v[148:149]
	v_fma_f64 v[220:221], v[230:231], s[20:21], -v[32:33]
	v_fma_f64 v[14:15], v[249:250], s[20:21], -v[14:15]
	v_add_f64 v[26:27], v[30:31], v[26:27]
	v_mul_f64 v[30:31], v[226:227], s[24:25]
	v_add_f64 v[4:5], v[10:11], v[4:5]
	v_fma_f64 v[10:11], v[216:217], s[8:9], v[28:29]
	v_add_f64 v[20:21], v[6:7], v[20:21]
	v_add_f64 v[64:65], v[160:161], -v[184:185]
	v_add_f64 v[78:79], v[162:163], -v[186:187]
	v_add_f64 v[6:7], v[172:173], v[164:165]
	v_add_f64 v[26:27], v[34:35], v[26:27]
	v_mul_f64 v[28:29], v[228:229], s[42:43]
	v_fma_f64 v[34:35], v[224:225], s[10:11], -v[30:31]
	v_fma_f64 v[12:13], v[247:248], s[10:11], -v[12:13]
	v_add_f64 v[14:15], v[14:15], v[4:5]
	v_fma_f64 v[32:33], v[230:231], s[20:21], v[32:33]
	v_add_f64 v[10:11], v[10:11], v[20:21]
	s_mov_b32 s26, 0x923c349f
	v_add_f64 v[26:27], v[220:221], v[26:27]
	s_mov_b32 s27, 0xbfeec746
	buffer_store_dword v36, off, s[60:63], 0 offset:128 ; 4-byte Folded Spill
	s_nop 0
	buffer_store_dword v37, off, s[60:63], 0 offset:132 ; 4-byte Folded Spill
	buffer_store_dword v38, off, s[60:63], 0 offset:136 ; 4-byte Folded Spill
	;; [unrolled: 1-line block ×3, first 2 shown]
	v_mul_f64 v[18:19], v[64:65], s[26:27]
	v_add_f64 v[243:244], v[162:163], v[186:187]
	v_add_f64 v[68:69], v[182:183], -v[170:171]
	v_add_f64 v[4:5], v[160:161], v[184:185]
	v_mul_f64 v[20:21], v[78:79], s[26:27]
	v_fma_f64 v[36:37], v[6:7], s[34:35], -v[28:29]
	v_add_f64 v[26:27], v[34:35], v[26:27]
	v_fma_f64 v[16:17], v[245:246], s[34:35], -v[16:17]
	v_add_f64 v[12:13], v[12:13], v[14:15]
	v_fma_f64 v[14:15], v[224:225], s[10:11], v[30:31]
	v_add_f64 v[10:11], v[32:33], v[10:11]
	s_mov_b32 s28, 0xc61f0d01
	s_mov_b32 s29, 0xbfd183b1
	v_fma_f64 v[24:25], v[243:244], s[28:29], v[18:19]
	v_add_f64 v[220:221], v[180:181], v[168:169]
	v_mul_f64 v[30:31], v[68:69], s[50:51]
	v_fma_f64 v[32:33], v[4:5], s[28:29], -v[20:21]
	v_add_f64 v[26:27], v[36:37], v[26:27]
	v_fma_f64 v[18:19], v[243:244], s[28:29], -v[18:19]
	v_add_f64 v[12:13], v[16:17], v[12:13]
	v_fma_f64 v[16:17], v[6:7], s[34:35], v[28:29]
	v_add_f64 v[10:11], v[14:15], v[10:11]
	s_mov_b32 s30, 0x3259b75e
	s_mov_b32 s31, 0x3fb79ee6
	v_fma_f64 v[14:15], v[237:238], s[30:31], v[8:9]
	v_add_f64 v[22:23], v[24:25], v[22:23]
	v_fma_f64 v[24:25], v[220:221], s[30:31], -v[30:31]
	v_add_f64 v[26:27], v[32:33], v[26:27]
	v_add_f64 v[12:13], v[18:19], v[12:13]
	v_fma_f64 v[18:19], v[4:5], s[28:29], v[20:21]
	v_add_f64 v[10:11], v[16:17], v[10:11]
	v_fma_f64 v[8:9], v[237:238], s[30:31], -v[8:9]
	s_mov_b32 s41, 0xbfefdd0d
	v_add_f64 v[28:29], v[14:15], v[22:23]
	s_mov_b32 s40, s50
	v_add_f64 v[26:27], v[24:25], v[26:27]
	buffer_store_dword v26, off, s[60:63], 0 offset:316 ; 4-byte Folded Spill
	s_nop 0
	buffer_store_dword v27, off, s[60:63], 0 offset:320 ; 4-byte Folded Spill
	buffer_store_dword v28, off, s[60:63], 0 offset:324 ; 4-byte Folded Spill
	;; [unrolled: 1-line block ×3, first 2 shown]
	v_add_f64 v[10:11], v[18:19], v[10:11]
	v_mul_f64 v[18:19], v[200:201], s[22:23]
	v_add_f64 v[46:47], v[8:9], v[12:13]
	v_fma_f64 v[8:9], v[220:221], s[30:31], v[30:31]
	v_mul_f64 v[28:29], v[239:240], s[42:43]
	v_mul_f64 v[34:35], v[76:77], s[22:23]
	v_mul_f64 v[36:37], v[241:242], s[40:41]
	s_mov_b32 s55, 0x3fe9895b
	s_mov_b32 s54, s24
	v_fma_f64 v[30:31], v[0:1], s[8:9], v[18:19]
	buffer_store_dword v40, off, s[60:63], 0 offset:144 ; 4-byte Folded Spill
	s_nop 0
	buffer_store_dword v41, off, s[60:63], 0 offset:148 ; 4-byte Folded Spill
	buffer_store_dword v42, off, s[60:63], 0 offset:152 ; 4-byte Folded Spill
	;; [unrolled: 1-line block ×3, first 2 shown]
	v_mul_f64 v[32:33], v[70:71], s[54:55]
	v_fma_f64 v[38:39], v[251:252], s[34:35], v[28:29]
	v_mul_f64 v[42:43], v[235:236], s[42:43]
	v_fma_f64 v[44:45], v[208:209], s[8:9], -v[34:35]
	v_fma_f64 v[18:19], v[0:1], s[8:9], -v[18:19]
	v_fma_f64 v[214:215], v[253:254], s[30:31], v[36:37]
	v_add_f64 v[30:31], v[138:139], v[30:31]
	s_mov_b32 s37, 0xbfd71e95
	s_mov_b32 s36, s38
	buffer_store_dword v48, off, s[60:63], 0 offset:112 ; 4-byte Folded Spill
	s_nop 0
	buffer_store_dword v49, off, s[60:63], 0 offset:116 ; 4-byte Folded Spill
	buffer_store_dword v50, off, s[60:63], 0 offset:120 ; 4-byte Folded Spill
	;; [unrolled: 1-line block ×3, first 2 shown]
	v_mul_f64 v[26:27], v[74:75], s[36:37]
	v_fma_f64 v[212:213], v[249:250], s[10:11], v[32:33]
	v_fma_f64 v[34:35], v[208:209], s[8:9], v[34:35]
	v_fma_f64 v[48:49], v[204:205], s[34:35], -v[42:43]
	v_add_f64 v[30:31], v[38:39], v[30:31]
	v_mul_f64 v[38:39], v[2:3], s[40:41]
	v_add_f64 v[44:45], v[136:137], v[44:45]
	v_fma_f64 v[28:29], v[251:252], s[34:35], -v[28:29]
	v_add_f64 v[18:19], v[138:139], v[18:19]
	v_mul_f64 v[20:21], v[72:73], s[12:13]
	v_fma_f64 v[40:41], v[247:248], s[14:15], v[26:27]
	v_fma_f64 v[42:43], v[204:205], s[34:35], v[42:43]
	v_add_f64 v[30:31], v[214:215], v[30:31]
	v_add_f64 v[34:35], v[136:137], v[34:35]
	v_mul_f64 v[50:51], v[218:219], s[54:55]
	v_fma_f64 v[214:215], v[216:217], s[30:31], -v[38:39]
	v_add_f64 v[44:45], v[48:49], v[44:45]
	v_fma_f64 v[36:37], v[253:254], s[30:31], -v[36:37]
	v_add_f64 v[18:19], v[28:29], v[18:19]
	v_mul_f64 v[14:15], v[64:65], s[46:47]
	v_add_f64 v[30:31], v[212:213], v[30:31]
	v_fma_f64 v[24:25], v[245:246], s[2:3], v[20:21]
	v_fma_f64 v[28:29], v[216:217], s[30:31], v[38:39]
	v_add_f64 v[34:35], v[42:43], v[34:35]
	v_mul_f64 v[38:39], v[226:227], s[36:37]
	v_fma_f64 v[42:43], v[230:231], s[10:11], -v[50:51]
	v_add_f64 v[44:45], v[214:215], v[44:45]
	v_fma_f64 v[32:33], v[249:250], s[10:11], -v[32:33]
	v_add_f64 v[18:19], v[36:37], v[18:19]
	v_add_f64 v[30:31], v[40:41], v[30:31]
	v_mul_f64 v[16:17], v[66:67], s[26:27]
	v_fma_f64 v[22:23], v[243:244], s[20:21], v[14:15]
	v_fma_f64 v[36:37], v[230:231], s[10:11], v[50:51]
	v_add_f64 v[28:29], v[28:29], v[34:35]
	v_mul_f64 v[34:35], v[228:229], s[12:13]
	v_fma_f64 v[40:41], v[224:225], s[14:15], -v[38:39]
	v_add_f64 v[42:43], v[42:43], v[44:45]
	v_fma_f64 v[26:27], v[247:248], s[14:15], -v[26:27]
	v_add_f64 v[18:19], v[32:33], v[18:19]
	v_add_f64 v[24:25], v[24:25], v[30:31]
	v_mov_b32_e32 v211, v79
	v_mov_b32_e32 v207, v69
	;; [unrolled: 1-line block ×4, first 2 shown]
	v_add_f64 v[44:45], v[8:9], v[10:11]
	v_fma_f64 v[12:13], v[237:238], s[28:29], v[16:17]
	v_fma_f64 v[32:33], v[224:225], s[14:15], v[38:39]
	v_add_f64 v[28:29], v[36:37], v[28:29]
	v_mul_f64 v[30:31], v[210:211], s[46:47]
	v_fma_f64 v[36:37], v[6:7], s[2:3], -v[34:35]
	v_add_f64 v[38:39], v[40:41], v[42:43]
	v_fma_f64 v[20:21], v[245:246], s[2:3], -v[20:21]
	v_add_f64 v[18:19], v[26:27], v[18:19]
	v_add_f64 v[22:23], v[22:23], v[24:25]
	v_mul_f64 v[24:25], v[206:207], s[26:27]
	buffer_store_dword v44, off, s[60:63], 0 offset:340 ; 4-byte Folded Spill
	s_nop 0
	buffer_store_dword v45, off, s[60:63], 0 offset:344 ; 4-byte Folded Spill
	buffer_store_dword v46, off, s[60:63], 0 offset:348 ; 4-byte Folded Spill
	;; [unrolled: 1-line block ×3, first 2 shown]
	v_fma_f64 v[26:27], v[6:7], s[2:3], v[34:35]
	v_add_f64 v[28:29], v[32:33], v[28:29]
	v_fma_f64 v[32:33], v[4:5], s[20:21], -v[30:31]
	v_add_f64 v[34:35], v[36:37], v[38:39]
	v_add_f64 v[18:19], v[20:21], v[18:19]
	v_fma_f64 v[20:21], v[4:5], s[20:21], v[30:31]
	v_add_f64 v[46:47], v[12:13], v[22:23]
	v_fma_f64 v[8:9], v[220:221], s[28:29], -v[24:25]
	v_fma_f64 v[12:13], v[237:238], s[28:29], -v[16:17]
	v_fma_f64 v[16:17], v[220:221], s[28:29], v[24:25]
	v_mul_f64 v[24:25], v[200:201], s[24:25]
	v_mul_f64 v[30:31], v[76:77], s[24:25]
	s_mov_b32 s53, 0x3feec746
	s_mov_b32 s52, s26
	v_fma_f64 v[14:15], v[243:244], s[20:21], -v[14:15]
	v_add_f64 v[26:27], v[26:27], v[28:29]
	v_add_f64 v[10:11], v[32:33], v[34:35]
	v_mul_f64 v[32:33], v[239:240], s[52:53]
	v_fma_f64 v[36:37], v[0:1], s[10:11], v[24:25]
	v_mul_f64 v[44:45], v[235:236], s[52:53]
	v_fma_f64 v[48:49], v[208:209], s[10:11], -v[30:31]
	v_fma_f64 v[24:25], v[0:1], s[10:11], -v[24:25]
	v_mov_b32_e32 v79, v65
	v_mov_b32_e32 v223, v67
	;; [unrolled: 1-line block ×3, first 2 shown]
	v_add_f64 v[14:15], v[14:15], v[18:19]
	v_add_f64 v[18:19], v[20:21], v[26:27]
	v_mul_f64 v[20:21], v[66:67], s[42:43]
	v_mov_b32_e32 v222, v66
	v_mul_f64 v[40:41], v[241:242], s[36:37]
	v_fma_f64 v[50:51], v[251:252], s[28:29], v[32:33]
	v_add_f64 v[36:37], v[138:139], v[36:37]
	v_mul_f64 v[64:65], v[2:3], s[36:37]
	v_fma_f64 v[66:67], v[204:205], s[28:29], -v[44:45]
	v_add_f64 v[48:49], v[136:137], v[48:49]
	v_fma_f64 v[32:33], v[251:252], s[28:29], -v[32:33]
	v_add_f64 v[24:25], v[138:139], v[24:25]
	v_mul_f64 v[212:213], v[70:71], s[22:23]
	v_fma_f64 v[214:215], v[253:254], s[14:15], v[40:41]
	v_add_f64 v[36:37], v[50:51], v[36:37]
	v_mul_f64 v[68:69], v[218:219], s[22:23]
	v_fma_f64 v[30:31], v[208:209], s[10:11], v[30:31]
	buffer_store_dword v233, off, s[60:63], 0 offset:336 ; 4-byte Folded Spill
	v_fma_f64 v[232:233], v[216:217], s[14:15], -v[64:65]
	v_add_f64 v[48:49], v[66:67], v[48:49]
	v_fma_f64 v[40:41], v[253:254], s[14:15], -v[40:41]
	v_add_f64 v[24:25], v[32:33], v[24:25]
	v_mul_f64 v[28:29], v[74:75], s[50:51]
	v_fma_f64 v[50:51], v[249:250], s[8:9], v[212:213]
	v_add_f64 v[32:33], v[214:215], v[36:37]
	v_mul_f64 v[36:37], v[226:227], s[50:51]
	v_fma_f64 v[44:45], v[204:205], s[28:29], v[44:45]
	v_add_f64 v[30:31], v[136:137], v[30:31]
	v_fma_f64 v[66:67], v[230:231], s[8:9], -v[68:69]
	v_add_f64 v[48:49], v[232:233], v[48:49]
	v_fma_f64 v[212:213], v[249:250], s[8:9], -v[212:213]
	v_add_f64 v[24:25], v[40:41], v[24:25]
	s_mov_b32 s45, 0xbfe58eea
	s_mov_b32 s44, s46
	v_mul_f64 v[26:27], v[72:73], s[44:45]
	v_fma_f64 v[42:43], v[247:248], s[30:31], v[28:29]
	v_add_f64 v[32:33], v[50:51], v[32:33]
	v_mul_f64 v[40:41], v[228:229], s[44:45]
	v_fma_f64 v[50:51], v[216:217], s[14:15], v[64:65]
	v_add_f64 v[30:31], v[44:45], v[30:31]
	v_fma_f64 v[44:45], v[224:225], s[30:31], -v[36:37]
	v_add_f64 v[48:49], v[66:67], v[48:49]
	v_fma_f64 v[28:29], v[247:248], s[30:31], -v[28:29]
	v_add_f64 v[24:25], v[212:213], v[24:25]
	v_fma_f64 v[38:39], v[245:246], s[20:21], v[26:27]
	v_add_f64 v[32:33], v[42:43], v[32:33]
	v_mul_f64 v[42:43], v[210:211], s[12:13]
	v_add_f64 v[30:31], v[50:51], v[30:31]
	v_fma_f64 v[50:51], v[6:7], s[20:21], -v[40:41]
	v_add_f64 v[44:45], v[44:45], v[48:49]
	v_mul_f64 v[22:23], v[78:79], s[12:13]
	v_fma_f64 v[64:65], v[230:231], s[8:9], v[68:69]
	v_fma_f64 v[26:27], v[245:246], s[20:21], -v[26:27]
	v_add_f64 v[24:25], v[28:29], v[24:25]
	v_add_f64 v[28:29], v[38:39], v[32:33]
	v_fma_f64 v[38:39], v[4:5], s[2:3], -v[42:43]
	v_mul_f64 v[32:33], v[206:207], s[42:43]
	v_add_f64 v[44:45], v[50:51], v[44:45]
	v_fma_f64 v[34:35], v[243:244], s[2:3], v[22:23]
	v_fma_f64 v[36:37], v[224:225], s[30:31], v[36:37]
	v_add_f64 v[30:31], v[64:65], v[30:31]
	v_fma_f64 v[22:23], v[243:244], s[2:3], -v[22:23]
	v_add_f64 v[24:25], v[26:27], v[24:25]
	v_add_f64 v[14:15], v[12:13], v[14:15]
	;; [unrolled: 1-line block ×5, first 2 shown]
	v_fma_f64 v[26:27], v[237:238], s[34:35], v[20:21]
	v_add_f64 v[28:29], v[34:35], v[28:29]
	v_add_f64 v[30:31], v[36:37], v[30:31]
	v_fma_f64 v[36:37], v[220:221], s[34:35], -v[32:33]
	v_fma_f64 v[20:21], v[237:238], s[34:35], -v[20:21]
	v_add_f64 v[22:23], v[22:23], v[24:25]
	v_mul_f64 v[16:17], v[200:201], s[26:27]
	buffer_store_dword v44, off, s[60:63], 0 offset:356 ; 4-byte Folded Spill
	s_nop 0
	buffer_store_dword v45, off, s[60:63], 0 offset:360 ; 4-byte Folded Spill
	buffer_store_dword v46, off, s[60:63], 0 offset:364 ; 4-byte Folded Spill
	buffer_store_dword v47, off, s[60:63], 0 offset:368 ; 4-byte Folded Spill
	buffer_store_dword v12, off, s[60:63], 0 offset:388 ; 4-byte Folded Spill
	s_nop 0
	buffer_store_dword v13, off, s[60:63], 0 offset:392 ; 4-byte Folded Spill
	buffer_store_dword v14, off, s[60:63], 0 offset:396 ; 4-byte Folded Spill
	;; [unrolled: 1-line block ×3, first 2 shown]
	v_add_f64 v[14:15], v[26:27], v[28:29]
	s_mov_b32 s57, 0x3fe0d888
	v_add_f64 v[12:13], v[36:37], v[38:39]
	s_mov_b32 s56, s22
	v_fma_f64 v[34:35], v[6:7], s[20:21], v[40:41]
	v_add_f64 v[50:51], v[20:21], v[22:23]
	v_mul_f64 v[18:19], v[76:77], s[26:27]
	v_mul_f64 v[20:21], v[239:240], s[56:57]
	v_fma_f64 v[24:25], v[0:1], s[28:29], v[16:17]
	v_fma_f64 v[16:17], v[0:1], s[28:29], -v[16:17]
	buffer_store_dword v12, off, s[60:63], 0 offset:372 ; 4-byte Folded Spill
	s_nop 0
	buffer_store_dword v13, off, s[60:63], 0 offset:376 ; 4-byte Folded Spill
	buffer_store_dword v14, off, s[60:63], 0 offset:380 ; 4-byte Folded Spill
	;; [unrolled: 1-line block ×3, first 2 shown]
	v_fma_f64 v[12:13], v[220:221], s[34:35], v[32:33]
	v_add_f64 v[10:11], v[34:35], v[30:31]
	v_mul_f64 v[26:27], v[235:236], s[56:57]
	v_fma_f64 v[28:29], v[208:209], s[28:29], -v[18:19]
	v_mul_f64 v[30:31], v[241:242], s[46:47]
	v_fma_f64 v[32:33], v[251:252], s[8:9], v[20:21]
	v_add_f64 v[24:25], v[138:139], v[24:25]
	v_fma_f64 v[20:21], v[251:252], s[8:9], -v[20:21]
	v_add_f64 v[16:17], v[138:139], v[16:17]
	s_mov_b32 s49, 0xbfeca52d
	s_mov_b32 s48, s42
	v_mul_f64 v[34:35], v[2:3], s[46:47]
	v_fma_f64 v[36:37], v[204:205], s[8:9], -v[26:27]
	v_add_f64 v[28:29], v[136:137], v[28:29]
	v_mul_f64 v[38:39], v[70:71], s[48:49]
	v_fma_f64 v[40:41], v[253:254], s[20:21], v[30:31]
	v_add_f64 v[24:25], v[32:33], v[24:25]
	v_fma_f64 v[30:31], v[253:254], s[20:21], -v[30:31]
	v_add_f64 v[16:17], v[20:21], v[16:17]
	v_fma_f64 v[8:9], v[4:5], s[2:3], v[42:43]
	v_mul_f64 v[32:33], v[218:219], s[48:49]
	v_fma_f64 v[42:43], v[216:217], s[20:21], -v[34:35]
	v_add_f64 v[28:29], v[36:37], v[28:29]
	v_mul_f64 v[36:37], v[74:75], s[12:13]
	v_fma_f64 v[44:45], v[249:250], s[34:35], v[38:39]
	v_add_f64 v[20:21], v[40:41], v[24:25]
	v_fma_f64 v[38:39], v[249:250], s[34:35], -v[38:39]
	v_add_f64 v[16:17], v[30:31], v[16:17]
	v_mul_f64 v[24:25], v[226:227], s[12:13]
	v_fma_f64 v[40:41], v[230:231], s[34:35], -v[32:33]
	v_add_f64 v[28:29], v[42:43], v[28:29]
	v_mul_f64 v[42:43], v[72:73], s[50:51]
	v_fma_f64 v[48:49], v[247:248], s[2:3], v[36:37]
	v_add_f64 v[20:21], v[44:45], v[20:21]
	v_fma_f64 v[36:37], v[247:248], s[2:3], -v[36:37]
	v_fma_f64 v[18:19], v[208:209], s[28:29], v[18:19]
	v_add_f64 v[16:17], v[38:39], v[16:17]
	v_mul_f64 v[14:15], v[78:79], s[36:37]
	v_mul_f64 v[30:31], v[228:229], s[50:51]
	v_fma_f64 v[44:45], v[224:225], s[2:3], -v[24:25]
	v_add_f64 v[28:29], v[40:41], v[28:29]
	v_fma_f64 v[40:41], v[245:246], s[30:31], v[42:43]
	v_add_f64 v[20:21], v[48:49], v[20:21]
	v_fma_f64 v[42:43], v[245:246], s[30:31], -v[42:43]
	v_fma_f64 v[26:27], v[204:205], s[8:9], v[26:27]
	v_add_f64 v[18:19], v[136:137], v[18:19]
	v_add_f64 v[16:17], v[36:37], v[16:17]
	v_mov_b32_e32 v68, v222
	v_add_f64 v[8:9], v[8:9], v[10:11]
	v_mul_f64 v[10:11], v[222:223], s[24:25]
	v_mov_b32_e32 v69, v223
	v_mov_b32_e32 v223, v211
	;; [unrolled: 1-line block ×3, first 2 shown]
	v_fma_f64 v[22:23], v[243:244], s[14:15], v[14:15]
	v_mul_f64 v[38:39], v[222:223], s[36:37]
	v_fma_f64 v[48:49], v[6:7], s[30:31], -v[30:31]
	v_add_f64 v[28:29], v[44:45], v[28:29]
	v_add_f64 v[20:21], v[40:41], v[20:21]
	v_fma_f64 v[14:15], v[243:244], s[14:15], -v[14:15]
	v_fma_f64 v[34:35], v[216:217], s[20:21], v[34:35]
	v_add_f64 v[18:19], v[26:27], v[18:19]
	v_add_f64 v[16:17], v[42:43], v[16:17]
	v_mov_b32_e32 v46, v206
	v_mov_b32_e32 v47, v207
	v_mul_f64 v[36:37], v[46:47], s[24:25]
	v_fma_f64 v[40:41], v[4:5], s[14:15], -v[38:39]
	v_add_f64 v[28:29], v[48:49], v[28:29]
	v_fma_f64 v[26:27], v[237:238], s[10:11], v[10:11]
	v_add_f64 v[20:21], v[22:23], v[20:21]
	v_fma_f64 v[10:11], v[237:238], s[10:11], -v[10:11]
	v_fma_f64 v[32:33], v[230:231], s[34:35], v[32:33]
	v_add_f64 v[18:19], v[34:35], v[18:19]
	v_add_f64 v[14:15], v[14:15], v[16:17]
	;; [unrolled: 1-line block ×3, first 2 shown]
	v_mul_f64 v[8:9], v[200:201], s[40:41]
	v_mul_f64 v[16:17], v[76:77], s[40:41]
	v_fma_f64 v[22:23], v[220:221], s[10:11], -v[36:37]
	v_add_f64 v[28:29], v[40:41], v[28:29]
	v_add_f64 v[42:43], v[26:27], v[20:21]
	v_fma_f64 v[12:13], v[224:225], s[2:3], v[24:25]
	v_add_f64 v[18:19], v[32:33], v[18:19]
	v_add_f64 v[66:67], v[10:11], v[14:15]
	v_mul_f64 v[14:15], v[239:240], s[12:13]
	v_fma_f64 v[20:21], v[0:1], s[30:31], v[8:9]
	v_mul_f64 v[24:25], v[235:236], s[12:13]
	v_fma_f64 v[26:27], v[208:209], s[30:31], -v[16:17]
	v_add_f64 v[40:41], v[22:23], v[28:29]
	v_fma_f64 v[22:23], v[6:7], s[30:31], v[30:31]
	v_add_f64 v[12:13], v[12:13], v[18:19]
	v_mul_f64 v[28:29], v[241:242], s[52:53]
	v_fma_f64 v[30:31], v[251:252], s[2:3], v[14:15]
	v_add_f64 v[20:21], v[138:139], v[20:21]
	v_mul_f64 v[32:33], v[2:3], s[52:53]
	v_fma_f64 v[34:35], v[204:205], s[2:3], -v[24:25]
	v_add_f64 v[26:27], v[136:137], v[26:27]
	v_fma_f64 v[10:11], v[220:221], s[10:11], v[36:37]
	v_fma_f64 v[18:19], v[4:5], s[14:15], v[38:39]
	v_add_f64 v[12:13], v[22:23], v[12:13]
	v_fma_f64 v[8:9], v[0:1], s[30:31], -v[8:9]
	v_mul_f64 v[22:23], v[70:71], s[38:39]
	v_fma_f64 v[36:37], v[253:254], s[28:29], v[28:29]
	v_add_f64 v[20:21], v[30:31], v[20:21]
	v_mul_f64 v[30:31], v[218:219], s[38:39]
	v_fma_f64 v[38:39], v[216:217], s[28:29], -v[32:33]
	v_add_f64 v[26:27], v[34:35], v[26:27]
	buffer_store_dword v48, off, s[60:63], 0 offset:420 ; 4-byte Folded Spill
	s_nop 0
	buffer_store_dword v49, off, s[60:63], 0 offset:424 ; 4-byte Folded Spill
	buffer_store_dword v50, off, s[60:63], 0 offset:428 ; 4-byte Folded Spill
	;; [unrolled: 1-line block ×4, first 2 shown]
	s_nop 0
	buffer_store_dword v41, off, s[60:63], 0 offset:408 ; 4-byte Folded Spill
	buffer_store_dword v42, off, s[60:63], 0 offset:412 ; 4-byte Folded Spill
	;; [unrolled: 1-line block ×3, first 2 shown]
	v_fma_f64 v[14:15], v[251:252], s[2:3], -v[14:15]
	v_add_f64 v[8:9], v[138:139], v[8:9]
	v_mul_f64 v[34:35], v[74:75], s[48:49]
	v_fma_f64 v[40:41], v[249:250], s[14:15], v[22:23]
	v_add_f64 v[20:21], v[36:37], v[20:21]
	v_mul_f64 v[36:37], v[226:227], s[48:49]
	v_fma_f64 v[42:43], v[230:231], s[14:15], -v[30:31]
	v_add_f64 v[26:27], v[38:39], v[26:27]
	v_fma_f64 v[28:29], v[253:254], s[28:29], -v[28:29]
	v_add_f64 v[8:9], v[14:15], v[8:9]
	v_mul_f64 v[14:15], v[72:73], s[22:23]
	v_fma_f64 v[38:39], v[247:248], s[34:35], v[34:35]
	v_add_f64 v[20:21], v[40:41], v[20:21]
	v_mul_f64 v[40:41], v[228:229], s[22:23]
	v_fma_f64 v[44:45], v[224:225], s[34:35], -v[36:37]
	v_add_f64 v[26:27], v[42:43], v[26:27]
	;; [unrolled: 8-line block ×4, first 2 shown]
	v_fma_f64 v[14:15], v[245:246], s[8:9], -v[14:15]
	v_add_f64 v[8:9], v[34:35], v[8:9]
	v_add_f64 v[12:13], v[18:19], v[12:13]
	v_fma_f64 v[18:19], v[237:238], s[20:21], v[22:23]
	v_add_f64 v[20:21], v[44:45], v[20:21]
	v_fma_f64 v[16:17], v[208:209], s[30:31], v[16:17]
	v_fma_f64 v[34:35], v[220:221], s[20:21], -v[42:43]
	v_add_f64 v[26:27], v[50:51], v[26:27]
	v_mov_b32_e32 v207, v73
	v_add_f64 v[8:9], v[14:15], v[8:9]
	v_add_f64 v[64:65], v[10:11], v[12:13]
	buffer_store_dword v64, off, s[60:63], 0 offset:452 ; 4-byte Folded Spill
	s_nop 0
	buffer_store_dword v65, off, s[60:63], 0 offset:456 ; 4-byte Folded Spill
	buffer_store_dword v66, off, s[60:63], 0 offset:460 ; 4-byte Folded Spill
	;; [unrolled: 1-line block ×3, first 2 shown]
	v_add_f64 v[14:15], v[136:137], v[16:17]
	v_add_f64 v[18:19], v[18:19], v[20:21]
	;; [unrolled: 1-line block ×3, first 2 shown]
	buffer_store_dword v16, off, s[60:63], 0 offset:436 ; 4-byte Folded Spill
	s_nop 0
	buffer_store_dword v17, off, s[60:63], 0 offset:440 ; 4-byte Folded Spill
	buffer_store_dword v18, off, s[60:63], 0 offset:444 ; 4-byte Folded Spill
	;; [unrolled: 1-line block ×4, first 2 shown]
	s_nop 0
	buffer_store_dword v77, off, s[60:63], 0 offset:472 ; 4-byte Folded Spill
	buffer_store_dword v235, off, s[60:63], 0 offset:476 ; 4-byte Folded Spill
	s_nop 0
	buffer_store_dword v236, off, s[60:63], 0 offset:480 ; 4-byte Folded Spill
	v_mov_b32_e32 v206, v72
	v_mov_b32_e32 v73, v3
	;; [unrolled: 1-line block ×3, first 2 shown]
	buffer_store_dword v72, off, s[60:63], 0 offset:484 ; 4-byte Folded Spill
	s_nop 0
	buffer_store_dword v73, off, s[60:63], 0 offset:488 ; 4-byte Folded Spill
	v_mov_b32_e32 v212, v218
	v_mov_b32_e32 v211, v75
	;; [unrolled: 1-line block ×6, first 2 shown]
	buffer_store_dword v74, off, s[60:63], 0 offset:492 ; 4-byte Folded Spill
	s_nop 0
	buffer_store_dword v75, off, s[60:63], 0 offset:496 ; 4-byte Folded Spill
	v_fma_f64 v[10:11], v[204:205], s[2:3], v[24:25]
	v_mul_f64 v[12:13], v[200:201], s[48:49]
	v_fma_f64 v[28:29], v[243:244], s[10:11], -v[28:29]
	v_fma_f64 v[16:17], v[237:238], s[20:21], -v[22:23]
	v_fma_f64 v[18:19], v[216:217], s[28:29], v[32:33]
	v_mul_f64 v[20:21], v[239:240], s[24:25]
	s_mov_b32 s51, 0x3fc7851a
	s_mov_b32 s50, s12
	v_add_f64 v[10:11], v[10:11], v[14:15]
	v_fma_f64 v[22:23], v[0:1], s[34:35], v[12:13]
	v_add_f64 v[8:9], v[28:29], v[8:9]
	v_fma_f64 v[14:15], v[230:231], s[14:15], v[30:31]
	v_mul_f64 v[26:27], v[241:242], s[50:51]
	v_fma_f64 v[28:29], v[251:252], s[10:11], v[20:21]
	v_fma_f64 v[30:31], v[224:225], s[34:35], v[36:37]
	v_mul_f64 v[36:37], v[70:71], s[52:53]
	v_add_f64 v[10:11], v[18:19], v[10:11]
	v_add_f64 v[22:23], v[138:139], v[22:23]
	v_fma_f64 v[18:19], v[220:221], s[20:21], v[42:43]
	v_mul_f64 v[44:45], v[210:211], s[46:47]
	v_fma_f64 v[42:43], v[253:254], s[2:3], v[26:27]
	v_fma_f64 v[12:13], v[0:1], s[34:35], -v[12:13]
	v_fma_f64 v[20:21], v[251:252], s[10:11], -v[20:21]
	v_fma_f64 v[48:49], v[249:250], s[28:29], v[36:37]
	v_add_f64 v[10:11], v[14:15], v[10:11]
	v_add_f64 v[22:23], v[28:29], v[22:23]
	v_fma_f64 v[14:15], v[6:7], s[8:9], v[40:41]
	v_fma_f64 v[50:51], v[247:248], s[20:21], v[44:45]
	v_fma_f64 v[26:27], v[253:254], s[2:3], -v[26:27]
	v_add_f64 v[12:13], v[138:139], v[12:13]
	v_fma_f64 v[36:37], v[249:250], s[28:29], -v[36:37]
	v_mov_b32_e32 v219, v47
	v_add_f64 v[10:11], v[30:31], v[10:11]
	v_add_f64 v[22:23], v[42:43], v[22:23]
	v_fma_f64 v[30:31], v[4:5], s[10:11], v[38:39]
	v_mov_b32_e32 v218, v46
	v_mov_b32_e32 v46, v68
	v_add_f64 v[12:13], v[20:21], v[12:13]
	v_mov_b32_e32 v47, v69
	v_add_f64 v[10:11], v[14:15], v[10:11]
	v_add_f64 v[22:23], v[48:49], v[22:23]
	v_mul_f64 v[48:49], v[226:227], s[46:47]
	v_add_f64 v[12:13], v[26:27], v[12:13]
	v_add_f64 v[30:31], v[30:31], v[10:11]
	;; [unrolled: 1-line block ×3, first 2 shown]
	v_mul_f64 v[50:51], v[228:229], s[36:37]
	v_fma_f64 v[66:67], v[224:225], s[20:21], -v[48:49]
	v_add_f64 v[10:11], v[16:17], v[8:9]
	v_fma_f64 v[16:17], v[247:248], s[20:21], -v[44:45]
	v_add_f64 v[12:13], v[36:37], v[12:13]
	v_fma_f64 v[48:49], v[224:225], s[20:21], v[48:49]
	v_add_f64 v[8:9], v[18:19], v[30:31]
	v_mul_f64 v[18:19], v[200:201], s[44:45]
	v_fma_f64 v[20:21], v[6:7], s[14:15], -v[50:51]
	v_fma_f64 v[50:51], v[6:7], s[14:15], v[50:51]
	v_add_f64 v[12:13], v[16:17], v[12:13]
	v_fma_f64 v[36:37], v[0:1], s[20:21], v[18:19]
	v_mul_f64 v[24:25], v[76:77], s[48:49]
	v_mul_f64 v[32:33], v[235:236], s[24:25]
	v_mul_f64 v[28:29], v[72:73], s[50:51]
	v_add_f64 v[36:37], v[138:139], v[36:37]
	v_fma_f64 v[34:35], v[208:209], s[34:35], -v[24:25]
	v_fma_f64 v[40:41], v[204:205], s[10:11], -v[32:33]
	v_fma_f64 v[24:25], v[208:209], s[34:35], v[24:25]
	v_fma_f64 v[32:33], v[204:205], s[10:11], v[32:33]
	v_mul_f64 v[38:39], v[74:75], s[52:53]
	v_fma_f64 v[42:43], v[216:217], s[2:3], -v[28:29]
	v_fma_f64 v[28:29], v[216:217], s[2:3], v[28:29]
	v_add_f64 v[34:35], v[136:137], v[34:35]
	v_add_f64 v[24:25], v[136:137], v[24:25]
	v_fma_f64 v[14:15], v[230:231], s[28:29], -v[38:39]
	v_fma_f64 v[38:39], v[230:231], s[28:29], v[38:39]
	v_add_f64 v[34:35], v[40:41], v[34:35]
	v_mul_f64 v[40:41], v[206:207], s[36:37]
	v_add_f64 v[24:25], v[32:33], v[24:25]
	v_mul_f64 v[32:33], v[70:71], s[12:13]
	v_add_f64 v[34:35], v[42:43], v[34:35]
	v_fma_f64 v[64:65], v[245:246], s[14:15], v[40:41]
	v_mul_f64 v[42:43], v[78:79], s[40:41]
	v_fma_f64 v[30:31], v[245:246], s[14:15], -v[40:41]
	v_mul_f64 v[40:41], v[76:77], s[44:45]
	v_add_f64 v[24:25], v[28:29], v[24:25]
	v_mul_f64 v[28:29], v[210:211], s[56:57]
	v_fma_f64 v[232:233], v[249:250], s[2:3], v[32:33]
	v_add_f64 v[14:15], v[14:15], v[34:35]
	v_add_f64 v[22:23], v[64:65], v[22:23]
	v_mul_f64 v[64:65], v[222:223], s[40:41]
	v_mul_f64 v[34:35], v[68:69], s[22:23]
	v_fma_f64 v[68:69], v[243:244], s[30:31], v[42:43]
	v_fma_f64 v[16:17], v[243:244], s[30:31], -v[42:43]
	v_mul_f64 v[42:43], v[241:242], s[24:25]
	v_add_f64 v[12:13], v[30:31], v[12:13]
	v_add_f64 v[14:15], v[66:67], v[14:15]
	v_mul_f64 v[30:31], v[235:236], s[40:41]
	v_fma_f64 v[26:27], v[4:5], s[30:31], -v[64:65]
	v_fma_f64 v[66:67], v[237:238], s[8:9], v[34:35]
	v_add_f64 v[22:23], v[68:69], v[22:23]
	v_mov_b32_e32 v236, v234
	v_fma_f64 v[212:213], v[253:254], s[10:11], v[42:43]
	v_add_f64 v[24:25], v[38:39], v[24:25]
	v_add_f64 v[20:21], v[20:21], v[14:15]
	v_fma_f64 v[214:215], v[204:205], s[30:31], -v[30:31]
	v_mul_f64 v[68:69], v[218:219], s[22:23]
	v_fma_f64 v[64:65], v[4:5], s[30:31], v[64:65]
	v_add_f64 v[14:15], v[66:67], v[22:23]
	v_fma_f64 v[66:67], v[208:209], s[20:21], -v[40:41]
	v_add_f64 v[16:17], v[16:17], v[12:13]
	v_add_f64 v[24:25], v[48:49], v[24:25]
	;; [unrolled: 1-line block ×3, first 2 shown]
	v_fma_f64 v[26:27], v[237:238], s[8:9], -v[34:35]
	v_mul_f64 v[34:35], v[239:240], s[40:41]
	v_fma_f64 v[22:23], v[220:221], s[8:9], -v[68:69]
	v_fma_f64 v[68:69], v[220:221], s[8:9], v[68:69]
	v_add_f64 v[66:67], v[136:137], v[66:67]
	v_mul_f64 v[38:39], v[206:207], s[52:53]
	v_add_f64 v[24:25], v[50:51], v[24:25]
	v_fma_f64 v[40:41], v[208:209], s[20:21], v[40:41]
	v_fma_f64 v[42:43], v[253:254], s[10:11], -v[42:43]
	v_fma_f64 v[44:45], v[251:252], s[30:31], v[34:35]
	v_fma_f64 v[30:31], v[204:205], s[30:31], v[30:31]
	v_fma_f64 v[32:33], v[249:250], s[2:3], -v[32:33]
	v_add_f64 v[66:67], v[214:215], v[66:67]
	v_fma_f64 v[214:215], v[247:248], s[8:9], v[28:29]
	v_add_f64 v[24:25], v[64:65], v[24:25]
	v_mul_f64 v[48:49], v[78:79], s[42:43]
	v_fma_f64 v[28:29], v[247:248], s[8:9], -v[28:29]
	v_add_f64 v[36:37], v[44:45], v[36:37]
	v_mul_f64 v[44:45], v[72:73], s[24:25]
	v_mul_f64 v[50:51], v[46:47], s[38:39]
	v_add_f64 v[36:37], v[212:213], v[36:37]
	v_mul_f64 v[212:213], v[74:75], s[12:13]
	v_fma_f64 v[234:235], v[216:217], s[10:11], -v[44:45]
	v_fma_f64 v[74:75], v[245:246], s[28:29], v[38:39]
	v_fma_f64 v[64:65], v[237:238], s[14:15], v[50:51]
	v_add_f64 v[36:37], v[232:233], v[36:37]
	v_mul_f64 v[232:233], v[226:227], s[56:57]
	v_fma_f64 v[72:73], v[230:231], s[2:3], -v[212:213]
	v_add_f64 v[66:67], v[234:235], v[66:67]
	v_add_f64 v[36:37], v[214:215], v[36:37]
	v_mul_f64 v[214:215], v[228:229], s[52:53]
	v_fma_f64 v[234:235], v[224:225], s[8:9], -v[232:233]
	v_add_f64 v[66:67], v[72:73], v[66:67]
	v_fma_f64 v[72:73], v[243:244], s[34:35], v[48:49]
	v_fma_f64 v[48:49], v[243:244], s[34:35], -v[48:49]
	v_add_f64 v[36:37], v[74:75], v[36:37]
	v_fma_f64 v[12:13], v[6:7], s[28:29], -v[214:215]
	v_mul_f64 v[74:75], v[222:223], s[42:43]
	v_add_f64 v[66:67], v[234:235], v[66:67]
	v_fma_f64 v[234:235], v[0:1], s[20:21], -v[18:19]
	v_add_f64 v[18:19], v[26:27], v[16:17]
	v_add_f64 v[16:17], v[68:69], v[24:25]
	;; [unrolled: 1-line block ×3, first 2 shown]
	v_mul_f64 v[72:73], v[218:219], s[38:39]
	v_fma_f64 v[76:77], v[4:5], s[34:35], -v[74:75]
	v_add_f64 v[66:67], v[12:13], v[66:67]
	v_add_f64 v[12:13], v[22:23], v[20:21]
	v_fma_f64 v[20:21], v[251:252], s[30:31], -v[34:35]
	v_add_f64 v[24:25], v[138:139], v[234:235]
	buffer_load_dword v235, off, s[60:63], 0 offset:332 ; 4-byte Folded Reload
	v_add_f64 v[22:23], v[64:65], v[36:37]
	v_fma_f64 v[36:37], v[237:238], s[14:15], -v[50:51]
	v_mul_f64 v[50:51], v[200:201], s[36:37]
	buffer_load_dword v201, off, s[60:63], 0 offset:292 ; 4-byte Folded Reload
	buffer_load_dword v200, off, s[60:63], 0 offset:288 ; 4-byte Folded Reload
	v_add_f64 v[34:35], v[76:77], v[66:67]
	v_add_f64 v[66:67], v[136:137], v[140:141]
	;; [unrolled: 1-line block ×3, first 2 shown]
	v_fma_f64 v[24:25], v[245:246], s[28:29], -v[38:39]
	v_add_f64 v[38:39], v[136:137], v[40:41]
	v_fma_f64 v[26:27], v[220:221], s[14:15], -v[72:73]
	v_fma_f64 v[64:65], v[0:1], s[14:15], v[50:51]
	v_fma_f64 v[0:1], v[0:1], s[14:15], -v[50:51]
	v_mul_f64 v[40:41], v[239:240], s[44:45]
	v_add_f64 v[66:67], v[152:153], v[66:67]
	v_add_f64 v[20:21], v[42:43], v[20:21]
	v_fma_f64 v[42:43], v[216:217], s[10:11], v[44:45]
	v_add_f64 v[30:31], v[30:31], v[38:39]
	v_mul_f64 v[38:39], v[241:242], s[48:49]
	buffer_load_dword v242, off, s[60:63], 0 offset:92 ; 4-byte Folded Reload
	v_add_f64 v[44:45], v[138:139], v[142:143]
	v_fma_f64 v[68:69], v[251:252], s[20:21], v[40:41]
	v_add_f64 v[66:67], v[144:145], v[66:67]
	v_add_f64 v[20:21], v[32:33], v[20:21]
	v_fma_f64 v[32:33], v[230:231], s[2:3], v[212:213]
	v_add_f64 v[30:31], v[42:43], v[30:31]
	v_fma_f64 v[40:41], v[251:252], s[20:21], -v[40:41]
	v_add_f64 v[0:1], v[138:139], v[0:1]
	v_add_f64 v[44:45], v[154:155], v[44:45]
	;; [unrolled: 1-line block ×5, first 2 shown]
	v_fma_f64 v[28:29], v[224:225], s[8:9], v[232:233]
	buffer_load_dword v233, off, s[60:63], 0 offset:336 ; 4-byte Folded Reload
	v_add_f64 v[30:31], v[32:33], v[30:31]
	buffer_load_dword v2, off, s[60:63], 0 offset:468 ; 4-byte Folded Reload
	buffer_load_dword v3, off, s[60:63], 0 offset:472 ; 4-byte Folded Reload
	v_add_f64 v[44:45], v[146:147], v[44:45]
	v_mul_f64 v[42:43], v[70:71], s[40:41]
	v_add_f64 v[66:67], v[148:149], v[66:67]
	v_add_f64 v[20:21], v[24:25], v[20:21]
	v_fma_f64 v[24:25], v[6:7], s[28:29], v[214:215]
	v_fma_f64 v[70:71], v[253:254], s[34:35], v[38:39]
	v_add_f64 v[28:29], v[28:29], v[30:31]
	v_fma_f64 v[38:39], v[253:254], s[34:35], -v[38:39]
	v_add_f64 v[44:45], v[158:159], v[44:45]
	v_add_f64 v[0:1], v[40:41], v[0:1]
	;; [unrolled: 1-line block ×4, first 2 shown]
	v_fma_f64 v[48:49], v[4:5], s[34:35], v[74:75]
	v_mul_f64 v[32:33], v[210:211], s[26:27]
	v_add_f64 v[24:25], v[24:25], v[28:29]
	v_mul_f64 v[28:29], v[78:79], s[22:23]
	v_add_f64 v[44:45], v[150:151], v[44:45]
	v_fma_f64 v[68:69], v[249:250], s[30:31], v[42:43]
	v_fma_f64 v[42:43], v[249:250], s[30:31], -v[42:43]
	v_add_f64 v[140:141], v[36:37], v[20:21]
	v_fma_f64 v[20:21], v[220:221], s[14:15], v[72:73]
	v_add_f64 v[0:1], v[38:39], v[0:1]
	v_add_f64 v[24:25], v[48:49], v[24:25]
	v_mul_f64 v[48:49], v[46:47], s[12:13]
	buffer_load_dword v46, off, s[60:63], 0 offset:492 ; 4-byte Folded Reload
	buffer_load_dword v47, off, s[60:63], 0 offset:496 ; 4-byte Folded Reload
	;; [unrolled: 1-line block ×6, first 2 shown]
	v_add_f64 v[36:37], v[166:167], v[44:45]
	v_add_f64 v[44:45], v[164:165], v[66:67]
	;; [unrolled: 1-line block ×3, first 2 shown]
	v_mul_f64 v[30:31], v[206:207], s[24:25]
	v_fma_f64 v[70:71], v[247:248], s[28:29], v[32:33]
	v_mul_f64 v[74:75], v[226:227], s[26:27]
	v_fma_f64 v[32:33], v[247:248], s[28:29], -v[32:33]
	v_add_f64 v[0:1], v[42:43], v[0:1]
	v_fma_f64 v[66:67], v[243:244], s[8:9], v[28:29]
	v_add_f64 v[44:45], v[160:161], v[44:45]
	v_add_f64 v[64:65], v[68:69], v[64:65]
	v_fma_f64 v[68:69], v[245:246], s[10:11], v[30:31]
	v_fma_f64 v[30:31], v[245:246], s[10:11], -v[30:31]
	v_fma_f64 v[42:43], v[224:225], s[28:29], v[74:75]
	v_fma_f64 v[28:29], v[243:244], s[8:9], -v[28:29]
	v_add_f64 v[0:1], v[32:33], v[0:1]
	v_add_f64 v[36:37], v[162:163], v[36:37]
	;; [unrolled: 1-line block ×4, first 2 shown]
	v_mul_f64 v[70:71], v[222:223], s[22:23]
	v_mov_b32_e32 v234, v236
	s_waitcnt vmcnt(12)
	v_or_b32_e32 v241, 64, v235
	v_lshlrev_b32_e32 v212, 4, v235
	v_add_f64 v[0:1], v[30:31], v[0:1]
	v_add_f64 v[36:37], v[182:183], v[36:37]
	;; [unrolled: 1-line block ×4, first 2 shown]
	v_mul_f64 v[68:69], v[218:219], s[12:13]
	v_fma_f64 v[30:31], v[4:5], s[8:9], v[70:71]
	v_fma_f64 v[4:5], v[4:5], s[8:9], -v[70:71]
	v_add_f64 v[0:1], v[28:29], v[0:1]
	v_add_f64 v[36:37], v[170:171], v[36:37]
	;; [unrolled: 1-line block ×3, first 2 shown]
	v_fma_f64 v[28:29], v[220:221], s[2:3], v[68:69]
	v_add_f64 v[36:37], v[186:187], v[36:37]
	v_add_f64 v[44:45], v[172:173], v[44:45]
	;; [unrolled: 1-line block ×4, first 2 shown]
	s_waitcnt vmcnt(6)
	v_mul_f64 v[72:73], v[2:3], s[36:37]
	v_mul_f64 v[2:3], v[228:229], s[24:25]
	v_add_f64 v[36:37], v[190:191], v[36:37]
	v_add_f64 v[44:45], v[176:177], v[44:45]
	v_fma_f64 v[76:77], v[208:209], s[14:15], v[72:73]
	v_fma_f64 v[72:73], v[208:209], s[14:15], -v[72:73]
	v_fma_f64 v[32:33], v[6:7], s[10:11], v[2:3]
	v_fma_f64 v[2:3], v[6:7], s[10:11], -v[2:3]
	v_add_f64 v[36:37], v[178:179], v[36:37]
	v_add_f64 v[76:77], v[136:137], v[76:77]
	;; [unrolled: 1-line block ×3, first 2 shown]
	buffer_load_dword v254, off, s[60:63], 0 offset:284 ; 4-byte Folded Reload
	buffer_load_dword v253, off, s[60:63], 0 offset:280 ; 4-byte Folded Reload
	;; [unrolled: 1-line block ×4, first 2 shown]
	v_add_f64 v[36:37], v[198:199], v[36:37]
	s_waitcnt vmcnt(8)
	v_mul_f64 v[46:47], v[46:47], s[40:41]
	s_waitcnt vmcnt(6)
	v_mul_f64 v[50:51], v[50:51], s[44:45]
	;; [unrolled: 2-line block ×3, first 2 shown]
	v_add_f64 v[36:37], v[194:195], v[36:37]
	v_fma_f64 v[38:39], v[230:231], s[30:31], v[46:47]
	v_fma_f64 v[138:139], v[204:205], s[20:21], v[50:51]
	v_fma_f64 v[50:51], v[204:205], s[20:21], -v[50:51]
	v_fma_f64 v[40:41], v[216:217], s[34:35], v[78:79]
	v_fma_f64 v[78:79], v[216:217], s[34:35], -v[78:79]
	v_fma_f64 v[46:47], v[230:231], s[30:31], -v[46:47]
	buffer_load_dword v213, off, s[60:63], 0 offset:160 ; 4-byte Folded Reload
	buffer_load_dword v214, off, s[60:63], 0 offset:164 ; 4-byte Folded Reload
	;; [unrolled: 1-line block ×12, first 2 shown]
	v_add_f64 v[76:77], v[138:139], v[76:77]
	v_add_f64 v[50:51], v[50:51], v[72:73]
	;; [unrolled: 1-line block ×3, first 2 shown]
	v_mul_lo_u16_e32 v24, 17, v235
	v_add_f64 v[20:21], v[26:27], v[34:35]
	v_add_f64 v[40:41], v[40:41], v[76:77]
	v_add_f64 v[50:51], v[78:79], v[50:51]
	v_add_f64 v[38:39], v[38:39], v[40:41]
	v_fma_f64 v[40:41], v[224:225], s[28:29], -v[74:75]
	v_add_f64 v[46:47], v[46:47], v[50:51]
	buffer_load_dword v225, off, s[60:63], 0 offset:208 ; 4-byte Folded Reload
	buffer_load_dword v226, off, s[60:63], 0 offset:212 ; 4-byte Folded Reload
	;; [unrolled: 1-line block ×5, first 2 shown]
	v_add_f64 v[38:39], v[42:43], v[38:39]
	v_fma_f64 v[42:43], v[220:221], s[2:3], -v[68:69]
	v_add_f64 v[6:7], v[40:41], v[46:47]
	v_add_f64 v[40:41], v[196:197], v[44:45]
	;; [unrolled: 1-line block ×4, first 2 shown]
	v_fma_f64 v[6:7], v[237:238], s[2:3], -v[48:49]
	v_add_f64 v[38:39], v[192:193], v[40:41]
	v_add_f64 v[40:41], v[66:67], v[64:65]
	;; [unrolled: 1-line block ×3, first 2 shown]
	v_fma_f64 v[32:33], v[237:238], s[2:3], v[48:49]
	buffer_load_dword v237, off, s[60:63], 0 offset:240 ; 4-byte Folded Reload
	buffer_load_dword v238, off, s[60:63], 0 offset:244 ; 4-byte Folded Reload
	;; [unrolled: 1-line block ×16, first 2 shown]
	v_add_f64 v[44:45], v[4:5], v[2:3]
	v_add_f64 v[2:3], v[6:7], v[0:1]
	buffer_load_dword v4, off, s[60:63], 0 offset:300 ; 4-byte Folded Reload
	buffer_load_dword v5, off, s[60:63], 0 offset:304 ; 4-byte Folded Reload
	;; [unrolled: 1-line block ×4, first 2 shown]
	v_add_f64 v[0:1], v[28:29], v[30:31]
	v_add_f64 v[144:145], v[32:33], v[40:41]
	;; [unrolled: 1-line block ×3, first 2 shown]
	s_waitcnt vmcnt(38)
	v_mov_b32_e32 v236, v136
	s_waitcnt vmcnt(0)
	v_add_f64 v[6:7], v[6:7], v[36:37]
	v_add_f64 v[4:5], v[4:5], v[38:39]
	buffer_load_dword v36, off, s[60:63], 0 offset:128 ; 4-byte Folded Reload
	buffer_load_dword v37, off, s[60:63], 0 offset:132 ; 4-byte Folded Reload
	;; [unrolled: 1-line block ×13, first 2 shown]
	s_waitcnt vmcnt(0)
	v_lshl_add_u32 v24, v24, 4, v25
	ds_write_b128 v24, v[4:7]
	ds_write_b128 v24, v[0:3] offset:16
	ds_write_b128 v24, v[138:141] offset:32
	;; [unrolled: 1-line block ×4, first 2 shown]
	buffer_load_dword v0, off, s[60:63], 0 offset:452 ; 4-byte Folded Reload
	buffer_load_dword v1, off, s[60:63], 0 offset:456 ; 4-byte Folded Reload
	buffer_load_dword v2, off, s[60:63], 0 offset:460 ; 4-byte Folded Reload
	buffer_load_dword v3, off, s[60:63], 0 offset:464 ; 4-byte Folded Reload
	s_waitcnt vmcnt(0)
	ds_write_b128 v24, v[0:3] offset:80
	buffer_load_dword v0, off, s[60:63], 0 offset:420 ; 4-byte Folded Reload
	buffer_load_dword v1, off, s[60:63], 0 offset:424 ; 4-byte Folded Reload
	buffer_load_dword v2, off, s[60:63], 0 offset:428 ; 4-byte Folded Reload
	buffer_load_dword v3, off, s[60:63], 0 offset:432 ; 4-byte Folded Reload
	s_waitcnt vmcnt(0)
	ds_write_b128 v24, v[0:3] offset:96
	;; [unrolled: 6-line block ×9, first 2 shown]
	ds_write_b128 v24, v[12:15] offset:224
	ds_write_b128 v24, v[20:23] offset:240
	;; [unrolled: 1-line block ×3, first 2 shown]
.LBB0_13:
	s_or_b64 exec, exec, s[0:1]
	s_waitcnt lgkmcnt(0)
	s_barrier
	ds_read_b128 v[0:3], v255
	ds_read_b128 v[4:7], v255 offset:1088
	ds_read_b128 v[8:11], v255 offset:4352
	;; [unrolled: 1-line block ×15, first 2 shown]
	buffer_load_dword v64, off, s[60:63], 0 ; 4-byte Folded Reload
	buffer_load_dword v65, off, s[60:63], 0 offset:4 ; 4-byte Folded Reload
	buffer_load_dword v66, off, s[60:63], 0 offset:8 ; 4-byte Folded Reload
	;; [unrolled: 1-line block ×3, first 2 shown]
	s_waitcnt lgkmcnt(13)
	v_mul_f64 v[24:25], v[42:43], v[10:11]
	v_mul_f64 v[26:27], v[42:43], v[8:9]
	s_waitcnt lgkmcnt(11)
	v_mul_f64 v[28:29], v[38:39], v[18:19]
	v_mul_f64 v[30:31], v[38:39], v[16:17]
	;; [unrolled: 3-line block ×3, first 2 shown]
	s_waitcnt lgkmcnt(8)
	v_mul_f64 v[38:39], v[231:232], v[140:141]
	s_waitcnt lgkmcnt(5)
	v_mul_f64 v[42:43], v[239:240], v[152:153]
	v_fma_f64 v[8:9], v[40:41], v[8:9], v[24:25]
	v_fma_f64 v[10:11], v[40:41], v[10:11], -v[26:27]
	v_fma_f64 v[16:17], v[36:37], v[16:17], v[28:29]
	v_fma_f64 v[18:19], v[36:37], v[18:19], -v[30:31]
	;; [unrolled: 2-line block ×3, first 2 shown]
	v_mul_f64 v[28:29], v[50:51], v[14:15]
	v_mul_f64 v[30:31], v[50:51], v[12:13]
	;; [unrolled: 1-line block ×6, first 2 shown]
	v_add_f64 v[16:17], v[0:1], -v[16:17]
	v_add_f64 v[18:19], v[2:3], -v[18:19]
	v_fma_f64 v[12:13], v[48:49], v[12:13], v[28:29]
	v_fma_f64 v[14:15], v[48:49], v[14:15], -v[30:31]
	v_fma_f64 v[20:21], v[44:45], v[20:21], v[32:33]
	v_fma_f64 v[22:23], v[44:45], v[22:23], -v[34:35]
	;; [unrolled: 2-line block ×3, first 2 shown]
	v_add_f64 v[24:25], v[8:9], -v[24:25]
	v_add_f64 v[26:27], v[10:11], -v[26:27]
	v_fma_f64 v[32:33], v[237:238], v[152:153], v[40:41]
	v_fma_f64 v[34:35], v[237:238], v[154:155], -v[42:43]
	s_waitcnt lgkmcnt(3)
	v_mul_f64 v[36:37], v[223:224], v[162:163]
	v_mul_f64 v[38:39], v[223:224], v[160:161]
	v_add_f64 v[28:29], v[12:13], -v[28:29]
	v_add_f64 v[30:31], v[14:15], -v[30:31]
	s_waitcnt lgkmcnt(1)
	v_mul_f64 v[40:41], v[227:228], v[170:171]
	v_mul_f64 v[42:43], v[227:228], v[168:169]
	;; [unrolled: 1-line block ×4, first 2 shown]
	v_fma_f64 v[36:37], v[221:222], v[160:161], v[36:37]
	v_fma_f64 v[38:39], v[221:222], v[162:163], -v[38:39]
	s_waitcnt vmcnt(0) lgkmcnt(0)
	s_barrier
	v_fma_f64 v[40:41], v[225:226], v[168:169], v[40:41]
	v_fma_f64 v[42:43], v[225:226], v[170:171], -v[42:43]
	v_fma_f64 v[48:49], v[249:250], v[164:165], v[48:49]
	v_fma_f64 v[50:51], v[249:250], v[166:167], -v[50:51]
	v_add_f64 v[76:77], v[148:149], -v[48:49]
	v_add_f64 v[78:79], v[150:151], -v[50:51]
	v_fma_f64 v[140:141], v[148:149], 2.0, -v[76:77]
	v_fma_f64 v[142:143], v[150:151], 2.0, -v[78:79]
	v_mul_f64 v[44:45], v[66:67], v[158:159]
	v_mul_f64 v[46:47], v[66:67], v[156:157]
	v_add_f64 v[66:67], v[6:7], -v[22:23]
	v_fma_f64 v[22:23], v[2:3], 2.0, -v[18:19]
	v_fma_f64 v[2:3], v[10:11], 2.0, -v[26:27]
	;; [unrolled: 1-line block ×3, first 2 shown]
	v_mul_f64 v[14:15], v[219:220], v[172:173]
	v_fma_f64 v[44:45], v[64:65], v[156:157], v[44:45]
	v_fma_f64 v[46:47], v[64:65], v[158:159], -v[46:47]
	v_add_f64 v[64:65], v[4:5], -v[20:21]
	v_fma_f64 v[20:21], v[0:1], 2.0, -v[16:17]
	v_fma_f64 v[0:1], v[8:9], 2.0, -v[24:25]
	;; [unrolled: 1-line block ×4, first 2 shown]
	v_mul_f64 v[12:13], v[219:220], v[174:175]
	v_add_f64 v[2:3], v[22:23], -v[2:3]
	v_fma_f64 v[74:75], v[217:218], v[174:175], -v[14:15]
	v_fma_f64 v[68:69], v[4:5], 2.0, -v[64:65]
	v_add_f64 v[4:5], v[16:17], v[26:27]
	v_add_f64 v[0:1], v[20:21], -v[0:1]
	v_add_f64 v[10:11], v[70:71], -v[10:11]
	;; [unrolled: 1-line block ×3, first 2 shown]
	v_fma_f64 v[72:73], v[217:218], v[172:173], v[12:13]
	v_fma_f64 v[14:15], v[22:23], 2.0, -v[2:3]
	v_add_f64 v[50:51], v[46:47], -v[74:75]
	v_add_f64 v[8:9], v[68:69], -v[8:9]
	v_add_f64 v[24:25], v[64:65], v[30:31]
	v_fma_f64 v[12:13], v[20:21], 2.0, -v[0:1]
	v_fma_f64 v[22:23], v[70:71], 2.0, -v[10:11]
	v_add_f64 v[70:71], v[146:147], -v[38:39]
	v_add_f64 v[38:39], v[32:33], -v[40:41]
	;; [unrolled: 1-line block ×4, first 2 shown]
	v_fma_f64 v[20:21], v[68:69], 2.0, -v[8:9]
	v_add_f64 v[68:69], v[144:145], -v[36:37]
	v_add_f64 v[36:37], v[34:35], -v[42:43]
	v_fma_f64 v[42:43], v[46:47], 2.0, -v[50:51]
	v_fma_f64 v[74:75], v[146:147], 2.0, -v[70:71]
	;; [unrolled: 1-line block ×4, first 2 shown]
	v_add_f64 v[38:39], v[70:71], -v[38:39]
	v_add_f64 v[44:45], v[76:77], v[50:51]
	v_fma_f64 v[72:73], v[144:145], 2.0, -v[68:69]
	v_fma_f64 v[34:35], v[34:35], 2.0, -v[36:37]
	v_add_f64 v[36:37], v[68:69], v[36:37]
	v_add_f64 v[42:43], v[142:143], -v[42:43]
	v_add_f64 v[46:47], v[78:79], -v[48:49]
	;; [unrolled: 1-line block ×3, first 2 shown]
	v_fma_f64 v[16:17], v[16:17], 2.0, -v[4:5]
	v_fma_f64 v[18:19], v[18:19], 2.0, -v[6:7]
	v_add_f64 v[32:33], v[72:73], -v[32:33]
	v_add_f64 v[34:35], v[74:75], -v[34:35]
	v_fma_f64 v[28:29], v[64:65], 2.0, -v[24:25]
	v_fma_f64 v[30:31], v[66:67], 2.0, -v[26:27]
	;; [unrolled: 1-line block ×10, first 2 shown]
	ds_write_b128 v233, v[12:15]
	ds_write_b128 v233, v[16:19] offset:272
	ds_write_b128 v233, v[0:3] offset:544
	ds_write_b128 v233, v[4:7] offset:816
	ds_write_b128 v234, v[20:23]
	ds_write_b128 v234, v[28:31] offset:272
	ds_write_b128 v234, v[8:11] offset:544
	ds_write_b128 v234, v[24:27] offset:816
	;; [unrolled: 4-line block ×4, first 2 shown]
	s_waitcnt lgkmcnt(0)
	s_barrier
	ds_read_b128 v[0:3], v255
	ds_read_b128 v[4:7], v255 offset:1088
	ds_read_b128 v[8:11], v255 offset:4352
	;; [unrolled: 1-line block ×13, first 2 shown]
	s_waitcnt lgkmcnt(7)
	v_mul_f64 v[74:75], v[54:55], v[24:25]
	v_mul_f64 v[72:73], v[54:55], v[26:27]
	ds_read_b128 v[140:143], v255 offset:15232
	ds_read_b128 v[144:147], v255 offset:16320
	v_mul_f64 v[70:71], v[58:59], v[16:17]
	v_mul_f64 v[68:69], v[58:59], v[18:19]
	;; [unrolled: 1-line block ×4, first 2 shown]
	v_fma_f64 v[26:27], v[52:53], v[26:27], -v[74:75]
	buffer_load_dword v74, off, s[60:63], 0 offset:64 ; 4-byte Folded Reload
	buffer_load_dword v75, off, s[60:63], 0 offset:68 ; 4-byte Folded Reload
	buffer_load_dword v76, off, s[60:63], 0 offset:72 ; 4-byte Folded Reload
	buffer_load_dword v77, off, s[60:63], 0 offset:76 ; 4-byte Folded Reload
	v_fma_f64 v[24:25], v[52:53], v[24:25], v[72:73]
	v_fma_f64 v[18:19], v[56:57], v[18:19], -v[70:71]
	v_fma_f64 v[16:17], v[56:57], v[16:17], v[68:69]
	s_waitcnt lgkmcnt(8)
	v_mul_f64 v[68:69], v[54:55], v[30:31]
	v_mul_f64 v[54:55], v[54:55], v[28:29]
	v_fma_f64 v[10:11], v[60:61], v[10:11], -v[66:67]
	v_mul_f64 v[66:67], v[58:59], v[22:23]
	v_mul_f64 v[58:59], v[58:59], v[20:21]
	v_fma_f64 v[8:9], v[60:61], v[8:9], v[64:65]
	v_mul_f64 v[64:65], v[62:63], v[14:15]
	v_mul_f64 v[62:63], v[62:63], v[12:13]
	v_fma_f64 v[28:29], v[52:53], v[28:29], v[68:69]
	v_fma_f64 v[30:31], v[52:53], v[30:31], -v[54:55]
	v_add_f64 v[16:17], v[0:1], -v[16:17]
	v_fma_f64 v[20:21], v[56:57], v[20:21], v[66:67]
	v_fma_f64 v[22:23], v[56:57], v[22:23], -v[58:59]
	v_add_f64 v[18:19], v[2:3], -v[18:19]
	v_fma_f64 v[12:13], v[60:61], v[12:13], v[64:65]
	v_fma_f64 v[14:15], v[60:61], v[14:15], -v[62:63]
	s_waitcnt lgkmcnt(4)
	v_mul_f64 v[60:61], v[86:87], v[46:47]
	v_mul_f64 v[62:63], v[86:87], v[44:45]
	v_add_f64 v[24:25], v[8:9], -v[24:25]
	v_add_f64 v[26:27], v[10:11], -v[26:27]
	s_waitcnt lgkmcnt(2)
	v_mul_f64 v[64:65], v[82:83], v[138:139]
	v_mul_f64 v[66:67], v[82:83], v[136:137]
	v_add_f64 v[28:29], v[12:13], -v[28:29]
	v_add_f64 v[30:31], v[14:15], -v[30:31]
	v_fma_f64 v[44:45], v[84:85], v[44:45], v[60:61]
	v_fma_f64 v[46:47], v[84:85], v[46:47], -v[62:63]
	v_add_f64 v[60:61], v[4:5], -v[20:21]
	v_add_f64 v[62:63], v[6:7], -v[22:23]
	v_fma_f64 v[20:21], v[0:1], 2.0, -v[16:17]
	v_fma_f64 v[22:23], v[2:3], 2.0, -v[18:19]
	v_fma_f64 v[0:1], v[8:9], 2.0, -v[24:25]
	v_fma_f64 v[2:3], v[10:11], 2.0, -v[26:27]
	v_fma_f64 v[8:9], v[12:13], 2.0, -v[28:29]
	v_fma_f64 v[10:11], v[14:15], 2.0, -v[30:31]
	v_add_f64 v[0:1], v[20:21], -v[0:1]
	v_add_f64 v[2:3], v[22:23], -v[2:3]
	s_waitcnt vmcnt(0)
	v_mul_f64 v[70:71], v[76:77], v[42:43]
	v_mul_f64 v[72:73], v[76:77], v[40:41]
	v_fma_f64 v[40:41], v[74:75], v[40:41], v[70:71]
	v_fma_f64 v[42:43], v[74:75], v[42:43], -v[72:73]
	buffer_load_dword v72, off, s[60:63], 0 offset:48 ; 4-byte Folded Reload
	buffer_load_dword v73, off, s[60:63], 0 offset:52 ; 4-byte Folded Reload
	;; [unrolled: 1-line block ×8, first 2 shown]
	s_waitcnt vmcnt(4)
	v_mul_f64 v[52:53], v[74:75], v[50:51]
	v_mul_f64 v[54:55], v[74:75], v[48:49]
	s_waitcnt vmcnt(0) lgkmcnt(1)
	v_mul_f64 v[56:57], v[70:71], v[142:143]
	v_mul_f64 v[58:59], v[70:71], v[140:141]
	v_fma_f64 v[48:49], v[72:73], v[48:49], v[52:53]
	v_fma_f64 v[50:51], v[72:73], v[50:51], -v[54:55]
	buffer_load_dword v70, off, s[60:63], 0 offset:16 ; 4-byte Folded Reload
	buffer_load_dword v71, off, s[60:63], 0 offset:20 ; 4-byte Folded Reload
	;; [unrolled: 1-line block ×4, first 2 shown]
	v_fma_f64 v[52:53], v[68:69], v[140:141], v[56:57]
	v_fma_f64 v[54:55], v[68:69], v[142:143], -v[58:59]
	v_fma_f64 v[56:57], v[80:81], v[136:137], v[64:65]
	v_fma_f64 v[58:59], v[80:81], v[138:139], -v[66:67]
	v_fma_f64 v[64:65], v[4:5], 2.0, -v[60:61]
	v_fma_f64 v[66:67], v[6:7], 2.0, -v[62:63]
	v_add_f64 v[4:5], v[16:17], v[26:27]
	v_add_f64 v[6:7], v[18:19], -v[24:25]
	v_add_f64 v[24:25], v[60:61], v[30:31]
	v_add_f64 v[26:27], v[62:63], -v[28:29]
	s_waitcnt vmcnt(0) lgkmcnt(0)
	s_barrier
	v_add_f64 v[8:9], v[64:65], -v[8:9]
	v_add_f64 v[10:11], v[66:67], -v[10:11]
	v_fma_f64 v[16:17], v[16:17], 2.0, -v[4:5]
	v_fma_f64 v[18:19], v[18:19], 2.0, -v[6:7]
	;; [unrolled: 1-line block ×4, first 2 shown]
	v_add_f64 v[74:75], v[38:39], -v[58:59]
	v_mul_f64 v[12:13], v[72:73], v[146:147]
	v_mul_f64 v[14:15], v[72:73], v[144:145]
	v_add_f64 v[72:73], v[36:37], -v[56:57]
	v_fma_f64 v[68:69], v[70:71], v[144:145], v[12:13]
	v_fma_f64 v[70:71], v[70:71], v[146:147], -v[14:15]
	v_fma_f64 v[12:13], v[20:21], 2.0, -v[0:1]
	v_fma_f64 v[14:15], v[22:23], 2.0, -v[2:3]
	;; [unrolled: 1-line block ×4, first 2 shown]
	ds_write_b128 v255, v[12:15]
	ds_write_b128 v255, v[16:19] offset:1088
	ds_write_b128 v255, v[0:3] offset:2176
	;; [unrolled: 1-line block ×7, first 2 shown]
	buffer_load_dword v0, off, s[60:63], 0 offset:80 ; 4-byte Folded Reload
	v_add_f64 v[64:65], v[32:33], -v[48:49]
	v_add_f64 v[66:67], v[34:35], -v[50:51]
	;; [unrolled: 1-line block ×6, first 2 shown]
	v_fma_f64 v[68:69], v[36:37], 2.0, -v[72:73]
	v_fma_f64 v[70:71], v[38:39], 2.0, -v[74:75]
	;; [unrolled: 1-line block ×6, first 2 shown]
	v_add_f64 v[36:37], v[64:65], v[50:51]
	v_add_f64 v[38:39], v[66:67], -v[48:49]
	v_fma_f64 v[40:41], v[44:45], 2.0, -v[52:53]
	v_fma_f64 v[42:43], v[46:47], 2.0, -v[54:55]
	v_add_f64 v[44:45], v[72:73], v[54:55]
	v_add_f64 v[46:47], v[74:75], -v[52:53]
	v_add_f64 v[32:33], v[56:57], -v[32:33]
	;; [unrolled: 1-line block ×3, first 2 shown]
	v_fma_f64 v[52:53], v[64:65], 2.0, -v[36:37]
	v_fma_f64 v[54:55], v[66:67], 2.0, -v[38:39]
	v_add_f64 v[40:41], v[68:69], -v[40:41]
	v_add_f64 v[42:43], v[70:71], -v[42:43]
	v_fma_f64 v[60:61], v[72:73], 2.0, -v[44:45]
	v_fma_f64 v[62:63], v[74:75], 2.0, -v[46:47]
	;; [unrolled: 1-line block ×4, first 2 shown]
	s_waitcnt vmcnt(0)
	ds_write_b128 v0, v[48:51] offset:8704
	ds_write_b128 v0, v[52:55] offset:9792
	;; [unrolled: 1-line block ×4, first 2 shown]
	buffer_load_dword v0, off, s[60:63], 0 offset:84 ; 4-byte Folded Reload
	v_fma_f64 v[56:57], v[68:69], 2.0, -v[40:41]
	v_fma_f64 v[58:59], v[70:71], 2.0, -v[42:43]
	s_waitcnt vmcnt(0)
	ds_write_b128 v0, v[56:59] offset:13056
	ds_write_b128 v0, v[60:63] offset:14144
	;; [unrolled: 1-line block ×4, first 2 shown]
	s_waitcnt lgkmcnt(0)
	s_barrier
	ds_read_b128 v[0:3], v255
	ds_read_b128 v[4:7], v255 offset:1088
	ds_read_b128 v[8:11], v255 offset:8704
	;; [unrolled: 1-line block ×15, first 2 shown]
	s_waitcnt lgkmcnt(13)
	v_mul_f64 v[64:65], v[90:91], v[10:11]
	v_mul_f64 v[66:67], v[90:91], v[8:9]
	s_waitcnt lgkmcnt(12)
	v_mul_f64 v[68:69], v[94:95], v[14:15]
	v_mul_f64 v[70:71], v[94:95], v[12:13]
	;; [unrolled: 3-line block ×4, first 2 shown]
	v_fma_f64 v[8:9], v[88:89], v[8:9], v[64:65]
	v_fma_f64 v[10:11], v[88:89], v[10:11], -v[66:67]
	v_fma_f64 v[12:13], v[92:93], v[12:13], v[68:69]
	v_fma_f64 v[14:15], v[92:93], v[14:15], -v[70:71]
	;; [unrolled: 2-line block ×4, first 2 shown]
	s_waitcnt lgkmcnt(5)
	v_mul_f64 v[64:65], v[90:91], v[42:43]
	v_mul_f64 v[66:67], v[90:91], v[40:41]
	s_waitcnt lgkmcnt(4)
	v_mul_f64 v[68:69], v[94:95], v[46:47]
	v_mul_f64 v[70:71], v[94:95], v[44:45]
	;; [unrolled: 3-line block ×4, first 2 shown]
	v_fma_f64 v[40:41], v[88:89], v[40:41], v[64:65]
	v_fma_f64 v[42:43], v[88:89], v[42:43], -v[66:67]
	v_fma_f64 v[44:45], v[92:93], v[44:45], v[68:69]
	v_fma_f64 v[46:47], v[92:93], v[46:47], -v[70:71]
	;; [unrolled: 2-line block ×4, first 2 shown]
	v_add_f64 v[8:9], v[0:1], -v[8:9]
	v_add_f64 v[10:11], v[2:3], -v[10:11]
	;; [unrolled: 1-line block ×16, first 2 shown]
	v_fma_f64 v[0:1], v[0:1], 2.0, -v[8:9]
	v_fma_f64 v[2:3], v[2:3], 2.0, -v[10:11]
	;; [unrolled: 1-line block ×16, first 2 shown]
	s_barrier
	ds_write_b128 v255, v[0:3]
	ds_write_b128 v255, v[8:11] offset:4352
	ds_write_b128 v255, v[4:7] offset:1088
	ds_write_b128 v255, v[12:15] offset:5440
	ds_write_b128 v255, v[16:19] offset:2176
	ds_write_b128 v255, v[24:27] offset:6528
	ds_write_b128 v255, v[20:23] offset:3264
	ds_write_b128 v255, v[28:31] offset:7616
	ds_write_b128 v255, v[32:35] offset:8704
	ds_write_b128 v255, v[40:43] offset:13056
	ds_write_b128 v255, v[36:39] offset:9792
	ds_write_b128 v255, v[44:47] offset:14144
	ds_write_b128 v255, v[48:51] offset:10880
	ds_write_b128 v255, v[56:59] offset:15232
	ds_write_b128 v255, v[52:55] offset:11968
	ds_write_b128 v255, v[60:63] offset:16320
	s_waitcnt lgkmcnt(0)
	s_barrier
	ds_read_b128 v[0:3], v255
	ds_read_b128 v[4:7], v255 offset:1088
	ds_read_b128 v[8:11], v255 offset:8704
	;; [unrolled: 1-line block ×15, first 2 shown]
	s_waitcnt lgkmcnt(13)
	v_mul_f64 v[64:65], v[106:107], v[10:11]
	v_mul_f64 v[66:67], v[106:107], v[8:9]
	s_waitcnt lgkmcnt(12)
	v_mul_f64 v[68:69], v[110:111], v[14:15]
	v_mul_f64 v[70:71], v[110:111], v[12:13]
	;; [unrolled: 3-line block ×4, first 2 shown]
	v_fma_f64 v[8:9], v[104:105], v[8:9], v[64:65]
	v_fma_f64 v[10:11], v[104:105], v[10:11], -v[66:67]
	v_fma_f64 v[12:13], v[108:109], v[12:13], v[68:69]
	v_fma_f64 v[14:15], v[108:109], v[14:15], -v[70:71]
	;; [unrolled: 2-line block ×4, first 2 shown]
	s_waitcnt lgkmcnt(5)
	v_mul_f64 v[64:65], v[122:123], v[42:43]
	v_mul_f64 v[66:67], v[122:123], v[40:41]
	s_waitcnt lgkmcnt(4)
	v_mul_f64 v[68:69], v[126:127], v[46:47]
	v_mul_f64 v[70:71], v[126:127], v[44:45]
	s_waitcnt lgkmcnt(1)
	v_mul_f64 v[72:73], v[130:131], v[58:59]
	v_mul_f64 v[74:75], v[130:131], v[56:57]
	s_waitcnt lgkmcnt(0)
	v_mul_f64 v[76:77], v[134:135], v[62:63]
	v_mul_f64 v[78:79], v[134:135], v[60:61]
	v_fma_f64 v[40:41], v[120:121], v[40:41], v[64:65]
	v_fma_f64 v[42:43], v[120:121], v[42:43], -v[66:67]
	v_fma_f64 v[44:45], v[124:125], v[44:45], v[68:69]
	v_fma_f64 v[46:47], v[124:125], v[46:47], -v[70:71]
	;; [unrolled: 2-line block ×4, first 2 shown]
	v_add_f64 v[8:9], v[0:1], -v[8:9]
	v_add_f64 v[10:11], v[2:3], -v[10:11]
	;; [unrolled: 1-line block ×8, first 2 shown]
	v_fma_f64 v[0:1], v[0:1], 2.0, -v[8:9]
	v_fma_f64 v[2:3], v[2:3], 2.0, -v[10:11]
	v_add_f64 v[40:41], v[32:33], -v[40:41]
	v_add_f64 v[42:43], v[34:35], -v[42:43]
	;; [unrolled: 1-line block ×8, first 2 shown]
	v_fma_f64 v[4:5], v[4:5], 2.0, -v[12:13]
	v_fma_f64 v[6:7], v[6:7], 2.0, -v[14:15]
	;; [unrolled: 1-line block ×14, first 2 shown]
	ds_write_b128 v203, v[0:3]
	ds_write_b128 v203, v[8:11] offset:8704
	ds_write_b128 v203, v[4:7] offset:1088
	;; [unrolled: 1-line block ×15, first 2 shown]
	s_waitcnt lgkmcnt(0)
	s_barrier
	s_and_b64 exec, exec, vcc
	s_cbranch_execz .LBB0_15
; %bb.14:
	global_load_dwordx4 v[0:3], v202, s[16:17]
	ds_read_b128 v[4:7], v243
	v_mad_u64_u32 v[8:9], s[0:1], s6, v236, 0
	v_mad_u64_u32 v[10:11], s[0:1], s4, v235, 0
	;; [unrolled: 1-line block ×4, first 2 shown]
	v_or_b32_e32 v19, 0xc0, v235
	v_mov_b32_e32 v9, v14
	s_waitcnt vmcnt(0) lgkmcnt(0)
	v_mul_f64 v[12:13], v[6:7], v[2:3]
	v_mul_f64 v[2:3], v[4:5], v[2:3]
	v_fma_f64 v[4:5], v[4:5], v[0:1], v[12:13]
	v_fma_f64 v[0:1], v[0:1], v[6:7], -v[2:3]
	v_mad_u64_u32 v[15:16], s[0:1], s5, v235, v[11:12]
	s_mov_b32 s0, 0x1e1e1e1e
	s_mov_b32 s1, 0x3f4e1e1e
	v_lshlrev_b64 v[6:7], 4, v[8:9]
	v_mov_b32_e32 v11, v15
	v_mul_f64 v[2:3], v[4:5], s[0:1]
	v_mul_f64 v[4:5], v[0:1], s[0:1]
	v_mov_b32_e32 v12, s19
	v_lshlrev_b64 v[8:9], 4, v[10:11]
	v_add_co_u32_e32 v0, vcc, s18, v6
	v_addc_co_u32_e32 v1, vcc, v12, v7, vcc
	v_add_co_u32_e32 v6, vcc, v0, v8
	v_addc_co_u32_e32 v7, vcc, v1, v9, vcc
	global_store_dwordx4 v[6:7], v[2:5], off
	global_load_dwordx4 v[3:6], v202, s[16:17] offset:1024
	v_lshl_add_u32 v2, v242, 4, v212
	ds_read_b128 v[7:10], v2 offset:1024
	ds_read_b128 v[11:14], v2 offset:2048
	s_waitcnt vmcnt(0) lgkmcnt(1)
	v_mul_f64 v[15:16], v[9:10], v[5:6]
	v_mul_f64 v[5:6], v[7:8], v[5:6]
	v_fma_f64 v[7:8], v[7:8], v[3:4], v[15:16]
	v_fma_f64 v[5:6], v[3:4], v[9:10], -v[5:6]
	v_mov_b32_e32 v3, v18
	v_mad_u64_u32 v[9:10], s[2:3], s5, v241, v[3:4]
	v_or_b32_e32 v15, 0x80, v235
	v_mov_b32_e32 v18, v9
	v_mul_f64 v[3:4], v[7:8], s[0:1]
	v_mul_f64 v[5:6], v[5:6], s[0:1]
	v_lshlrev_b64 v[7:8], 4, v[17:18]
	v_mad_u64_u32 v[9:10], s[2:3], s4, v15, 0
	v_add_co_u32_e32 v7, vcc, v0, v7
	v_addc_co_u32_e32 v8, vcc, v1, v8, vcc
	global_store_dwordx4 v[7:8], v[3:6], off
	global_load_dwordx4 v[3:6], v202, s[16:17] offset:2048
	v_mad_u64_u32 v[17:18], s[2:3], s4, v19, 0
	s_waitcnt vmcnt(0) lgkmcnt(0)
	v_mul_f64 v[7:8], v[13:14], v[5:6]
	v_mul_f64 v[5:6], v[11:12], v[5:6]
	v_fma_f64 v[7:8], v[11:12], v[3:4], v[7:8]
	v_fma_f64 v[5:6], v[3:4], v[13:14], -v[5:6]
	v_mov_b32_e32 v3, v10
	v_mad_u64_u32 v[10:11], s[2:3], s5, v15, v[3:4]
	v_mul_f64 v[3:4], v[7:8], s[0:1]
	v_mul_f64 v[5:6], v[5:6], s[0:1]
	v_lshlrev_b64 v[7:8], 4, v[9:10]
	v_add_co_u32_e32 v7, vcc, v0, v7
	v_addc_co_u32_e32 v8, vcc, v1, v8, vcc
	global_store_dwordx4 v[7:8], v[3:6], off
	global_load_dwordx4 v[3:6], v202, s[16:17] offset:3072
	ds_read_b128 v[7:10], v2 offset:3072
	ds_read_b128 v[11:14], v2 offset:4096
	s_waitcnt vmcnt(0) lgkmcnt(1)
	v_mul_f64 v[15:16], v[9:10], v[5:6]
	v_mul_f64 v[5:6], v[7:8], v[5:6]
	v_fma_f64 v[7:8], v[7:8], v[3:4], v[15:16]
	v_fma_f64 v[5:6], v[3:4], v[9:10], -v[5:6]
	v_mov_b32_e32 v3, v18
	v_mad_u64_u32 v[9:10], s[2:3], s5, v19, v[3:4]
	v_or_b32_e32 v15, 0x100, v235
	v_lshlrev_b32_e32 v10, 4, v15
	v_mov_b32_e32 v18, v9
	v_mul_f64 v[3:4], v[7:8], s[0:1]
	v_mul_f64 v[5:6], v[5:6], s[0:1]
	v_lshlrev_b64 v[7:8], 4, v[17:18]
	v_or_b32_e32 v19, 0x140, v235
	v_add_co_u32_e32 v7, vcc, v0, v7
	v_addc_co_u32_e32 v8, vcc, v1, v8, vcc
	v_mad_u64_u32 v[17:18], s[2:3], s4, v19, 0
	global_store_dwordx4 v[7:8], v[3:6], off
	global_load_dwordx4 v[3:6], v10, s[16:17]
	v_mad_u64_u32 v[9:10], s[2:3], s4, v15, 0
	s_waitcnt vmcnt(0) lgkmcnt(0)
	v_mul_f64 v[7:8], v[13:14], v[5:6]
	v_mul_f64 v[5:6], v[11:12], v[5:6]
	v_fma_f64 v[7:8], v[11:12], v[3:4], v[7:8]
	v_fma_f64 v[5:6], v[3:4], v[13:14], -v[5:6]
	v_mov_b32_e32 v3, v10
	v_mad_u64_u32 v[10:11], s[2:3], s5, v15, v[3:4]
	v_lshlrev_b32_e32 v11, 4, v19
	v_mul_f64 v[3:4], v[7:8], s[0:1]
	v_mul_f64 v[5:6], v[5:6], s[0:1]
	v_lshlrev_b64 v[7:8], 4, v[9:10]
	v_add_co_u32_e32 v7, vcc, v0, v7
	v_addc_co_u32_e32 v8, vcc, v1, v8, vcc
	global_store_dwordx4 v[7:8], v[3:6], off
	global_load_dwordx4 v[3:6], v11, s[16:17]
	ds_read_b128 v[7:10], v2 offset:5120
	ds_read_b128 v[11:14], v2 offset:6144
	s_waitcnt vmcnt(0) lgkmcnt(1)
	v_mul_f64 v[15:16], v[9:10], v[5:6]
	v_mul_f64 v[5:6], v[7:8], v[5:6]
	v_fma_f64 v[7:8], v[7:8], v[3:4], v[15:16]
	v_fma_f64 v[5:6], v[3:4], v[9:10], -v[5:6]
	v_mov_b32_e32 v3, v18
	v_mad_u64_u32 v[9:10], s[2:3], s5, v19, v[3:4]
	v_or_b32_e32 v15, 0x180, v235
	v_lshlrev_b32_e32 v10, 4, v15
	v_mov_b32_e32 v18, v9
	v_mul_f64 v[3:4], v[7:8], s[0:1]
	v_mul_f64 v[5:6], v[5:6], s[0:1]
	v_lshlrev_b64 v[7:8], 4, v[17:18]
	v_or_b32_e32 v19, 0x1c0, v235
	v_add_co_u32_e32 v7, vcc, v0, v7
	v_addc_co_u32_e32 v8, vcc, v1, v8, vcc
	v_mad_u64_u32 v[17:18], s[2:3], s4, v19, 0
	global_store_dwordx4 v[7:8], v[3:6], off
	global_load_dwordx4 v[3:6], v10, s[16:17]
	v_mad_u64_u32 v[9:10], s[2:3], s4, v15, 0
	s_waitcnt vmcnt(0) lgkmcnt(0)
	v_mul_f64 v[7:8], v[13:14], v[5:6]
	v_mul_f64 v[5:6], v[11:12], v[5:6]
	v_fma_f64 v[7:8], v[11:12], v[3:4], v[7:8]
	v_fma_f64 v[5:6], v[3:4], v[13:14], -v[5:6]
	v_mov_b32_e32 v3, v10
	v_mad_u64_u32 v[10:11], s[2:3], s5, v15, v[3:4]
	v_lshlrev_b32_e32 v11, 4, v19
	v_mul_f64 v[3:4], v[7:8], s[0:1]
	v_mul_f64 v[5:6], v[5:6], s[0:1]
	v_lshlrev_b64 v[7:8], 4, v[9:10]
	v_add_co_u32_e32 v7, vcc, v0, v7
	v_addc_co_u32_e32 v8, vcc, v1, v8, vcc
	global_store_dwordx4 v[7:8], v[3:6], off
	global_load_dwordx4 v[3:6], v11, s[16:17]
	;; [unrolled: 37-line block ×6, first 2 shown]
	ds_read_b128 v[7:10], v2 offset:15360
	ds_read_b128 v[11:14], v2 offset:16384
	v_mov_b32_e32 v2, v18
	s_waitcnt vmcnt(0) lgkmcnt(1)
	v_mul_f64 v[15:16], v[9:10], v[5:6]
	v_mul_f64 v[5:6], v[7:8], v[5:6]
	v_fma_f64 v[7:8], v[7:8], v[3:4], v[15:16]
	v_fma_f64 v[4:5], v[3:4], v[9:10], -v[5:6]
	v_mad_u64_u32 v[9:10], s[2:3], s5, v19, v[2:3]
	v_or_b32_e32 v15, 0x400, v235
	v_mov_b32_e32 v18, v9
	v_mul_f64 v[2:3], v[7:8], s[0:1]
	v_mul_f64 v[4:5], v[4:5], s[0:1]
	v_lshlrev_b64 v[6:7], 4, v[17:18]
	v_lshlrev_b32_e32 v8, 4, v15
	v_add_co_u32_e32 v6, vcc, v0, v6
	v_addc_co_u32_e32 v7, vcc, v1, v7, vcc
	global_store_dwordx4 v[6:7], v[2:5], off
	global_load_dwordx4 v[2:5], v8, s[16:17]
	v_mad_u64_u32 v[8:9], s[2:3], s4, v15, 0
	s_waitcnt vmcnt(0) lgkmcnt(0)
	v_mul_f64 v[6:7], v[13:14], v[4:5]
	v_mul_f64 v[4:5], v[11:12], v[4:5]
	v_fma_f64 v[6:7], v[11:12], v[2:3], v[6:7]
	v_fma_f64 v[4:5], v[2:3], v[13:14], -v[4:5]
	v_mov_b32_e32 v2, v9
	v_mad_u64_u32 v[9:10], s[2:3], s5, v15, v[2:3]
	v_mul_f64 v[2:3], v[6:7], s[0:1]
	v_mul_f64 v[4:5], v[4:5], s[0:1]
	v_lshlrev_b64 v[6:7], 4, v[8:9]
	v_add_co_u32_e32 v0, vcc, v0, v6
	v_addc_co_u32_e32 v1, vcc, v1, v7, vcc
	global_store_dwordx4 v[0:1], v[2:5], off
.LBB0_15:
	s_endpgm
	.section	.rodata,"a",@progbits
	.p2align	6, 0x0
	.amdhsa_kernel bluestein_single_fwd_len1088_dim1_dp_op_CI_CI
		.amdhsa_group_segment_fixed_size 52224
		.amdhsa_private_segment_fixed_size 504
		.amdhsa_kernarg_size 104
		.amdhsa_user_sgpr_count 6
		.amdhsa_user_sgpr_private_segment_buffer 1
		.amdhsa_user_sgpr_dispatch_ptr 0
		.amdhsa_user_sgpr_queue_ptr 0
		.amdhsa_user_sgpr_kernarg_segment_ptr 1
		.amdhsa_user_sgpr_dispatch_id 0
		.amdhsa_user_sgpr_flat_scratch_init 0
		.amdhsa_user_sgpr_private_segment_size 0
		.amdhsa_uses_dynamic_stack 0
		.amdhsa_system_sgpr_private_segment_wavefront_offset 1
		.amdhsa_system_sgpr_workgroup_id_x 1
		.amdhsa_system_sgpr_workgroup_id_y 0
		.amdhsa_system_sgpr_workgroup_id_z 0
		.amdhsa_system_sgpr_workgroup_info 0
		.amdhsa_system_vgpr_workitem_id 0
		.amdhsa_next_free_vgpr 256
		.amdhsa_next_free_sgpr 64
		.amdhsa_reserve_vcc 1
		.amdhsa_reserve_flat_scratch 0
		.amdhsa_float_round_mode_32 0
		.amdhsa_float_round_mode_16_64 0
		.amdhsa_float_denorm_mode_32 3
		.amdhsa_float_denorm_mode_16_64 3
		.amdhsa_dx10_clamp 1
		.amdhsa_ieee_mode 1
		.amdhsa_fp16_overflow 0
		.amdhsa_exception_fp_ieee_invalid_op 0
		.amdhsa_exception_fp_denorm_src 0
		.amdhsa_exception_fp_ieee_div_zero 0
		.amdhsa_exception_fp_ieee_overflow 0
		.amdhsa_exception_fp_ieee_underflow 0
		.amdhsa_exception_fp_ieee_inexact 0
		.amdhsa_exception_int_div_zero 0
	.end_amdhsa_kernel
	.text
.Lfunc_end0:
	.size	bluestein_single_fwd_len1088_dim1_dp_op_CI_CI, .Lfunc_end0-bluestein_single_fwd_len1088_dim1_dp_op_CI_CI
                                        ; -- End function
	.section	.AMDGPU.csdata,"",@progbits
; Kernel info:
; codeLenInByte = 29504
; NumSgprs: 68
; NumVgprs: 256
; ScratchSize: 504
; MemoryBound: 0
; FloatMode: 240
; IeeeMode: 1
; LDSByteSize: 52224 bytes/workgroup (compile time only)
; SGPRBlocks: 8
; VGPRBlocks: 63
; NumSGPRsForWavesPerEU: 68
; NumVGPRsForWavesPerEU: 256
; Occupancy: 1
; WaveLimiterHint : 1
; COMPUTE_PGM_RSRC2:SCRATCH_EN: 1
; COMPUTE_PGM_RSRC2:USER_SGPR: 6
; COMPUTE_PGM_RSRC2:TRAP_HANDLER: 0
; COMPUTE_PGM_RSRC2:TGID_X_EN: 1
; COMPUTE_PGM_RSRC2:TGID_Y_EN: 0
; COMPUTE_PGM_RSRC2:TGID_Z_EN: 0
; COMPUTE_PGM_RSRC2:TIDIG_COMP_CNT: 0
	.type	__hip_cuid_36c71f82991ea3af,@object ; @__hip_cuid_36c71f82991ea3af
	.section	.bss,"aw",@nobits
	.globl	__hip_cuid_36c71f82991ea3af
__hip_cuid_36c71f82991ea3af:
	.byte	0                               ; 0x0
	.size	__hip_cuid_36c71f82991ea3af, 1

	.ident	"AMD clang version 19.0.0git (https://github.com/RadeonOpenCompute/llvm-project roc-6.4.0 25133 c7fe45cf4b819c5991fe208aaa96edf142730f1d)"
	.section	".note.GNU-stack","",@progbits
	.addrsig
	.addrsig_sym __hip_cuid_36c71f82991ea3af
	.amdgpu_metadata
---
amdhsa.kernels:
  - .args:
      - .actual_access:  read_only
        .address_space:  global
        .offset:         0
        .size:           8
        .value_kind:     global_buffer
      - .actual_access:  read_only
        .address_space:  global
        .offset:         8
        .size:           8
        .value_kind:     global_buffer
      - .actual_access:  read_only
        .address_space:  global
        .offset:         16
        .size:           8
        .value_kind:     global_buffer
      - .actual_access:  read_only
        .address_space:  global
        .offset:         24
        .size:           8
        .value_kind:     global_buffer
      - .actual_access:  read_only
        .address_space:  global
        .offset:         32
        .size:           8
        .value_kind:     global_buffer
      - .offset:         40
        .size:           8
        .value_kind:     by_value
      - .address_space:  global
        .offset:         48
        .size:           8
        .value_kind:     global_buffer
      - .address_space:  global
        .offset:         56
        .size:           8
        .value_kind:     global_buffer
      - .address_space:  global
        .offset:         64
        .size:           8
        .value_kind:     global_buffer
      - .address_space:  global
        .offset:         72
        .size:           8
        .value_kind:     global_buffer
      - .offset:         80
        .size:           4
        .value_kind:     by_value
      - .address_space:  global
        .offset:         88
        .size:           8
        .value_kind:     global_buffer
      - .address_space:  global
        .offset:         96
        .size:           8
        .value_kind:     global_buffer
    .group_segment_fixed_size: 52224
    .kernarg_segment_align: 8
    .kernarg_segment_size: 104
    .language:       OpenCL C
    .language_version:
      - 2
      - 0
    .max_flat_workgroup_size: 204
    .name:           bluestein_single_fwd_len1088_dim1_dp_op_CI_CI
    .private_segment_fixed_size: 504
    .sgpr_count:     68
    .sgpr_spill_count: 0
    .symbol:         bluestein_single_fwd_len1088_dim1_dp_op_CI_CI.kd
    .uniform_work_group_size: 1
    .uses_dynamic_stack: false
    .vgpr_count:     256
    .vgpr_spill_count: 125
    .wavefront_size: 64
amdhsa.target:   amdgcn-amd-amdhsa--gfx906
amdhsa.version:
  - 1
  - 2
...

	.end_amdgpu_metadata
